;; amdgpu-corpus repo=ROCm/rocFFT kind=compiled arch=gfx1030 opt=O3
	.text
	.amdgcn_target "amdgcn-amd-amdhsa--gfx1030"
	.amdhsa_code_object_version 6
	.protected	fft_rtc_fwd_len2430_factors_10_3_3_3_3_3_wgs_81_tpt_81_halfLds_sp_ip_CI_sbrr_dirReg ; -- Begin function fft_rtc_fwd_len2430_factors_10_3_3_3_3_3_wgs_81_tpt_81_halfLds_sp_ip_CI_sbrr_dirReg
	.globl	fft_rtc_fwd_len2430_factors_10_3_3_3_3_3_wgs_81_tpt_81_halfLds_sp_ip_CI_sbrr_dirReg
	.p2align	8
	.type	fft_rtc_fwd_len2430_factors_10_3_3_3_3_3_wgs_81_tpt_81_halfLds_sp_ip_CI_sbrr_dirReg,@function
fft_rtc_fwd_len2430_factors_10_3_3_3_3_3_wgs_81_tpt_81_halfLds_sp_ip_CI_sbrr_dirReg: ; @fft_rtc_fwd_len2430_factors_10_3_3_3_3_3_wgs_81_tpt_81_halfLds_sp_ip_CI_sbrr_dirReg
; %bb.0:
	s_clause 0x2
	s_load_dwordx2 s[14:15], s[4:5], 0x18
	s_load_dwordx4 s[8:11], s[4:5], 0x0
	s_load_dwordx2 s[12:13], s[4:5], 0x50
	v_mul_u32_u24_e32 v1, 0x32a, v0
	v_mov_b32_e32 v3, 0
	v_add_nc_u32_sdwa v5, s6, v1 dst_sel:DWORD dst_unused:UNUSED_PAD src0_sel:DWORD src1_sel:WORD_1
	v_mov_b32_e32 v1, 0
	v_mov_b32_e32 v6, v3
	v_mov_b32_e32 v2, 0
	s_waitcnt lgkmcnt(0)
	s_load_dwordx2 s[2:3], s[14:15], 0x0
	v_cmp_lt_u64_e64 s0, s[10:11], 2
	s_and_b32 vcc_lo, exec_lo, s0
	s_cbranch_vccnz .LBB0_8
; %bb.1:
	s_load_dwordx2 s[0:1], s[4:5], 0x10
	v_mov_b32_e32 v1, 0
	s_add_u32 s6, s14, 8
	v_mov_b32_e32 v2, 0
	s_addc_u32 s7, s15, 0
	s_mov_b64 s[18:19], 1
	s_waitcnt lgkmcnt(0)
	s_add_u32 s16, s0, 8
	s_addc_u32 s17, s1, 0
.LBB0_2:                                ; =>This Inner Loop Header: Depth=1
	s_load_dwordx2 s[20:21], s[16:17], 0x0
                                        ; implicit-def: $vgpr7_vgpr8
	s_mov_b32 s0, exec_lo
	s_waitcnt lgkmcnt(0)
	v_or_b32_e32 v4, s21, v6
	v_cmpx_ne_u64_e32 0, v[3:4]
	s_xor_b32 s1, exec_lo, s0
	s_cbranch_execz .LBB0_4
; %bb.3:                                ;   in Loop: Header=BB0_2 Depth=1
	v_cvt_f32_u32_e32 v4, s20
	v_cvt_f32_u32_e32 v7, s21
	s_sub_u32 s0, 0, s20
	s_subb_u32 s22, 0, s21
	v_fmac_f32_e32 v4, 0x4f800000, v7
	v_rcp_f32_e32 v4, v4
	v_mul_f32_e32 v4, 0x5f7ffffc, v4
	v_mul_f32_e32 v7, 0x2f800000, v4
	v_trunc_f32_e32 v7, v7
	v_fmac_f32_e32 v4, 0xcf800000, v7
	v_cvt_u32_f32_e32 v7, v7
	v_cvt_u32_f32_e32 v4, v4
	v_mul_lo_u32 v8, s0, v7
	v_mul_hi_u32 v9, s0, v4
	v_mul_lo_u32 v10, s22, v4
	v_add_nc_u32_e32 v8, v9, v8
	v_mul_lo_u32 v9, s0, v4
	v_add_nc_u32_e32 v8, v8, v10
	v_mul_hi_u32 v10, v4, v9
	v_mul_lo_u32 v11, v4, v8
	v_mul_hi_u32 v12, v4, v8
	v_mul_hi_u32 v13, v7, v9
	v_mul_lo_u32 v9, v7, v9
	v_mul_hi_u32 v14, v7, v8
	v_mul_lo_u32 v8, v7, v8
	v_add_co_u32 v10, vcc_lo, v10, v11
	v_add_co_ci_u32_e32 v11, vcc_lo, 0, v12, vcc_lo
	v_add_co_u32 v9, vcc_lo, v10, v9
	v_add_co_ci_u32_e32 v9, vcc_lo, v11, v13, vcc_lo
	v_add_co_ci_u32_e32 v10, vcc_lo, 0, v14, vcc_lo
	v_add_co_u32 v8, vcc_lo, v9, v8
	v_add_co_ci_u32_e32 v9, vcc_lo, 0, v10, vcc_lo
	v_add_co_u32 v4, vcc_lo, v4, v8
	v_add_co_ci_u32_e32 v7, vcc_lo, v7, v9, vcc_lo
	v_mul_hi_u32 v8, s0, v4
	v_mul_lo_u32 v10, s22, v4
	v_mul_lo_u32 v9, s0, v7
	v_add_nc_u32_e32 v8, v8, v9
	v_mul_lo_u32 v9, s0, v4
	v_add_nc_u32_e32 v8, v8, v10
	v_mul_hi_u32 v10, v4, v9
	v_mul_lo_u32 v11, v4, v8
	v_mul_hi_u32 v12, v4, v8
	v_mul_hi_u32 v13, v7, v9
	v_mul_lo_u32 v9, v7, v9
	v_mul_hi_u32 v14, v7, v8
	v_mul_lo_u32 v8, v7, v8
	v_add_co_u32 v10, vcc_lo, v10, v11
	v_add_co_ci_u32_e32 v11, vcc_lo, 0, v12, vcc_lo
	v_add_co_u32 v9, vcc_lo, v10, v9
	v_add_co_ci_u32_e32 v9, vcc_lo, v11, v13, vcc_lo
	v_add_co_ci_u32_e32 v10, vcc_lo, 0, v14, vcc_lo
	v_add_co_u32 v8, vcc_lo, v9, v8
	v_add_co_ci_u32_e32 v9, vcc_lo, 0, v10, vcc_lo
	v_add_co_u32 v4, vcc_lo, v4, v8
	v_add_co_ci_u32_e32 v11, vcc_lo, v7, v9, vcc_lo
	v_mul_hi_u32 v13, v5, v4
	v_mad_u64_u32 v[9:10], null, v6, v4, 0
	v_mad_u64_u32 v[7:8], null, v5, v11, 0
	;; [unrolled: 1-line block ×3, first 2 shown]
	v_add_co_u32 v4, vcc_lo, v13, v7
	v_add_co_ci_u32_e32 v7, vcc_lo, 0, v8, vcc_lo
	v_add_co_u32 v4, vcc_lo, v4, v9
	v_add_co_ci_u32_e32 v4, vcc_lo, v7, v10, vcc_lo
	v_add_co_ci_u32_e32 v7, vcc_lo, 0, v12, vcc_lo
	v_add_co_u32 v4, vcc_lo, v4, v11
	v_add_co_ci_u32_e32 v9, vcc_lo, 0, v7, vcc_lo
	v_mul_lo_u32 v10, s21, v4
	v_mad_u64_u32 v[7:8], null, s20, v4, 0
	v_mul_lo_u32 v11, s20, v9
	v_sub_co_u32 v7, vcc_lo, v5, v7
	v_add3_u32 v8, v8, v11, v10
	v_sub_nc_u32_e32 v10, v6, v8
	v_subrev_co_ci_u32_e64 v10, s0, s21, v10, vcc_lo
	v_add_co_u32 v11, s0, v4, 2
	v_add_co_ci_u32_e64 v12, s0, 0, v9, s0
	v_sub_co_u32 v13, s0, v7, s20
	v_sub_co_ci_u32_e32 v8, vcc_lo, v6, v8, vcc_lo
	v_subrev_co_ci_u32_e64 v10, s0, 0, v10, s0
	v_cmp_le_u32_e32 vcc_lo, s20, v13
	v_cmp_eq_u32_e64 s0, s21, v8
	v_cndmask_b32_e64 v13, 0, -1, vcc_lo
	v_cmp_le_u32_e32 vcc_lo, s21, v10
	v_cndmask_b32_e64 v14, 0, -1, vcc_lo
	v_cmp_le_u32_e32 vcc_lo, s20, v7
	;; [unrolled: 2-line block ×3, first 2 shown]
	v_cndmask_b32_e64 v15, 0, -1, vcc_lo
	v_cmp_eq_u32_e32 vcc_lo, s21, v10
	v_cndmask_b32_e64 v7, v15, v7, s0
	v_cndmask_b32_e32 v10, v14, v13, vcc_lo
	v_add_co_u32 v13, vcc_lo, v4, 1
	v_add_co_ci_u32_e32 v14, vcc_lo, 0, v9, vcc_lo
	v_cmp_ne_u32_e32 vcc_lo, 0, v10
	v_cndmask_b32_e32 v8, v14, v12, vcc_lo
	v_cndmask_b32_e32 v10, v13, v11, vcc_lo
	v_cmp_ne_u32_e32 vcc_lo, 0, v7
	v_cndmask_b32_e32 v8, v9, v8, vcc_lo
	v_cndmask_b32_e32 v7, v4, v10, vcc_lo
.LBB0_4:                                ;   in Loop: Header=BB0_2 Depth=1
	s_andn2_saveexec_b32 s0, s1
	s_cbranch_execz .LBB0_6
; %bb.5:                                ;   in Loop: Header=BB0_2 Depth=1
	v_cvt_f32_u32_e32 v4, s20
	s_sub_i32 s1, 0, s20
	v_rcp_iflag_f32_e32 v4, v4
	v_mul_f32_e32 v4, 0x4f7ffffe, v4
	v_cvt_u32_f32_e32 v4, v4
	v_mul_lo_u32 v7, s1, v4
	v_mul_hi_u32 v7, v4, v7
	v_add_nc_u32_e32 v4, v4, v7
	v_mul_hi_u32 v4, v5, v4
	v_mul_lo_u32 v7, v4, s20
	v_add_nc_u32_e32 v8, 1, v4
	v_sub_nc_u32_e32 v7, v5, v7
	v_subrev_nc_u32_e32 v9, s20, v7
	v_cmp_le_u32_e32 vcc_lo, s20, v7
	v_cndmask_b32_e32 v7, v7, v9, vcc_lo
	v_cndmask_b32_e32 v4, v4, v8, vcc_lo
	v_cmp_le_u32_e32 vcc_lo, s20, v7
	v_add_nc_u32_e32 v8, 1, v4
	v_cndmask_b32_e32 v7, v4, v8, vcc_lo
	v_mov_b32_e32 v8, v3
.LBB0_6:                                ;   in Loop: Header=BB0_2 Depth=1
	s_or_b32 exec_lo, exec_lo, s0
	s_load_dwordx2 s[0:1], s[6:7], 0x0
	v_mul_lo_u32 v4, v8, s20
	v_mul_lo_u32 v11, v7, s21
	v_mad_u64_u32 v[9:10], null, v7, s20, 0
	s_add_u32 s18, s18, 1
	s_addc_u32 s19, s19, 0
	s_add_u32 s6, s6, 8
	s_addc_u32 s7, s7, 0
	;; [unrolled: 2-line block ×3, first 2 shown]
	v_add3_u32 v4, v10, v11, v4
	v_sub_co_u32 v5, vcc_lo, v5, v9
	v_sub_co_ci_u32_e32 v4, vcc_lo, v6, v4, vcc_lo
	s_waitcnt lgkmcnt(0)
	v_mul_lo_u32 v6, s1, v5
	v_mul_lo_u32 v4, s0, v4
	v_mad_u64_u32 v[1:2], null, s0, v5, v[1:2]
	v_cmp_ge_u64_e64 s0, s[18:19], s[10:11]
	s_and_b32 vcc_lo, exec_lo, s0
	v_add3_u32 v2, v6, v2, v4
	s_cbranch_vccnz .LBB0_9
; %bb.7:                                ;   in Loop: Header=BB0_2 Depth=1
	v_mov_b32_e32 v5, v7
	v_mov_b32_e32 v6, v8
	s_branch .LBB0_2
.LBB0_8:
	v_mov_b32_e32 v8, v6
	v_mov_b32_e32 v7, v5
.LBB0_9:
	s_lshl_b64 s[0:1], s[10:11], 3
	v_mul_hi_u32 v3, 0x3291620, v0
	s_add_u32 s0, s14, s0
	s_addc_u32 s1, s15, s1
	s_load_dwordx2 s[4:5], s[4:5], 0x20
	s_load_dwordx2 s[0:1], s[0:1], 0x0
                                        ; implicit-def: $vgpr86
                                        ; implicit-def: $vgpr85
                                        ; implicit-def: $vgpr87
                                        ; implicit-def: $vgpr88
                                        ; implicit-def: $vgpr89
                                        ; implicit-def: $vgpr90
                                        ; implicit-def: $vgpr91
                                        ; implicit-def: $vgpr92
                                        ; implicit-def: $vgpr93
	v_mul_u32_u24_e32 v3, 0x51, v3
	v_sub_nc_u32_e32 v80, v0, v3
	v_add_nc_u32_e32 v79, 0x51, v80
	v_add_nc_u32_e32 v76, 0xa2, v80
	;; [unrolled: 1-line block ×5, first 2 shown]
	s_waitcnt lgkmcnt(0)
	v_cmp_gt_u64_e32 vcc_lo, s[4:5], v[7:8]
	v_mul_lo_u32 v3, s0, v8
	v_mul_lo_u32 v4, s1, v7
	v_mad_u64_u32 v[0:1], null, s0, v7, v[1:2]
	v_cmp_le_u64_e64 s0, s[4:5], v[7:8]
	v_add_nc_u32_e32 v68, 0x1e6, v80
	v_add_nc_u32_e32 v65, 0x237, v80
	;; [unrolled: 1-line block ×4, first 2 shown]
	v_add3_u32 v1, v4, v1, v3
	s_and_saveexec_b32 s1, s0
	s_xor_b32 s0, exec_lo, s1
; %bb.10:
	v_add_nc_u32_e32 v86, 0x51, v80
	v_add_nc_u32_e32 v85, 0xa2, v80
	;; [unrolled: 1-line block ×9, first 2 shown]
; %bb.11:
	s_or_saveexec_b32 s1, s0
	v_lshlrev_b64 v[0:1], 3, v[0:1]
	v_add_nc_u32_e32 v78, 0x3cc, v80
	v_add_nc_u32_e32 v81, 0x6a5, v80
	;; [unrolled: 1-line block ×12, first 2 shown]
                                        ; implicit-def: $vgpr11
                                        ; implicit-def: $vgpr7
                                        ; implicit-def: $vgpr17
                                        ; implicit-def: $vgpr9
                                        ; implicit-def: $vgpr21
                                        ; implicit-def: $vgpr15
                                        ; implicit-def: $vgpr41
                                        ; implicit-def: $vgpr13
                                        ; implicit-def: $vgpr5
                                        ; implicit-def: $vgpr3
                                        ; implicit-def: $vgpr25
                                        ; implicit-def: $vgpr27
                                        ; implicit-def: $vgpr35
                                        ; implicit-def: $vgpr29
                                        ; implicit-def: $vgpr39
                                        ; implicit-def: $vgpr33
                                        ; implicit-def: $vgpr43
                                        ; implicit-def: $vgpr31
                                        ; implicit-def: $vgpr23
                                        ; implicit-def: $vgpr19
                                        ; implicit-def: $vgpr48
                                        ; implicit-def: $vgpr58
                                        ; implicit-def: $vgpr50
                                        ; implicit-def: $vgpr56
                                        ; implicit-def: $vgpr54
                                        ; implicit-def: $vgpr62
                                        ; implicit-def: $vgpr52
                                        ; implicit-def: $vgpr60
                                        ; implicit-def: $vgpr46
                                        ; implicit-def: $vgpr37
	s_xor_b32 exec_lo, exec_lo, s1
	s_cbranch_execz .LBB0_13
; %bb.12:
	v_mad_u64_u32 v[4:5], null, s2, v80, 0
	v_mad_u64_u32 v[6:7], null, s2, v73, 0
	;; [unrolled: 1-line block ×3, first 2 shown]
	v_add_nc_u32_e32 v20, 0x4bf, v80
	v_add_nc_u32_e32 v23, 0x5b2, v80
	v_mov_b32_e32 v2, v5
	v_mad_u64_u32 v[25:26], null, s2, v66, 0
	v_mov_b32_e32 v3, v7
	v_mad_u64_u32 v[18:19], null, s2, v23, 0
	v_mad_u64_u32 v[27:28], null, s2, v79, 0
	;; [unrolled: 1-line block ×3, first 2 shown]
	v_mov_b32_e32 v2, v9
	v_mad_u64_u32 v[11:12], null, s2, v63, 0
	v_mad_u64_u32 v[13:14], null, s3, v73, v[3:4]
	;; [unrolled: 1-line block ×3, first 2 shown]
	v_mov_b32_e32 v5, v10
	v_add_co_u32 v2, s0, s12, v0
	v_mov_b32_e32 v10, v12
	v_mov_b32_e32 v7, v13
	v_lshlrev_b64 v[4:5], 3, v[4:5]
	v_mov_b32_e32 v9, v14
	v_mad_u64_u32 v[13:14], null, s2, v78, 0
	v_mad_u64_u32 v[15:16], null, s3, v63, v[10:11]
	;; [unrolled: 1-line block ×3, first 2 shown]
	v_add_co_ci_u32_e64 v3, s0, s13, v1, s0
	v_lshlrev_b64 v[6:7], 3, v[6:7]
	v_mov_b32_e32 v10, v14
	v_mov_b32_e32 v12, v15
	v_add_co_u32 v4, s0, v2, v4
	v_lshlrev_b64 v[8:9], 3, v[8:9]
	v_add_co_ci_u32_e64 v5, s0, v3, v5, s0
	v_mad_u64_u32 v[14:15], null, s3, v78, v[10:11]
	v_lshlrev_b64 v[11:12], 3, v[11:12]
	v_add_co_u32 v6, s0, v2, v6
	v_mov_b32_e32 v10, v17
	v_add_co_ci_u32_e64 v7, s0, v3, v7, s0
	v_add_co_u32 v8, s0, v2, v8
	v_add_co_ci_u32_e64 v9, s0, v3, v9, s0
	v_mad_u64_u32 v[20:21], null, s3, v20, v[10:11]
	v_mov_b32_e32 v10, v19
	v_mad_u64_u32 v[21:22], null, s2, v81, 0
	v_add_co_u32 v11, s0, v2, v11
	v_lshlrev_b64 v[13:14], 3, v[13:14]
	v_mov_b32_e32 v17, v20
	v_add_co_ci_u32_e64 v12, s0, v3, v12, s0
	v_mad_u64_u32 v[23:24], null, s3, v23, v[10:11]
	v_mov_b32_e32 v10, v22
	v_lshlrev_b64 v[15:16], 3, v[16:17]
	v_add_co_u32 v13, s0, v2, v13
	v_add_co_ci_u32_e64 v14, s0, v3, v14, s0
	v_mov_b32_e32 v19, v23
	v_mad_u64_u32 v[22:23], null, s3, v81, v[10:11]
	v_mad_u64_u32 v[23:24], null, s2, v71, 0
	v_lshlrev_b64 v[17:18], 3, v[18:19]
	v_mov_b32_e32 v19, v26
	v_add_co_u32 v15, s0, v2, v15
	v_mad_u64_u32 v[31:32], null, s2, v65, 0
	v_mov_b32_e32 v10, v24
	v_mad_u64_u32 v[19:20], null, s3, v66, v[19:20]
	v_lshlrev_b64 v[20:21], 3, v[21:22]
	v_add_co_ci_u32_e64 v16, s0, v3, v16, s0
	v_mad_u64_u32 v[29:30], null, s3, v71, v[10:11]
	v_mov_b32_e32 v10, v28
	v_add_co_u32 v17, s0, v2, v17
	v_mov_b32_e32 v26, v19
	v_add_co_ci_u32_e64 v18, s0, v3, v18, s0
	v_mov_b32_e32 v24, v29
	v_mad_u64_u32 v[28:29], null, s3, v79, v[10:11]
	v_mad_u64_u32 v[29:30], null, s2, v69, 0
	v_add_co_u32 v19, s0, v2, v20
	v_add_co_ci_u32_e64 v20, s0, v3, v21, s0
	v_lshlrev_b64 v[21:22], 3, v[23:24]
	v_lshlrev_b64 v[23:24], 3, v[25:26]
	v_mov_b32_e32 v10, v30
	v_mov_b32_e32 v25, v32
	v_mad_u64_u32 v[35:36], null, s2, v75, 0
	v_add_co_u32 v21, s0, v2, v21
	v_mad_u64_u32 v[32:33], null, s3, v69, v[10:11]
	v_mad_u64_u32 v[25:26], null, s3, v65, v[25:26]
	;; [unrolled: 1-line block ×3, first 2 shown]
	v_lshlrev_b64 v[26:27], 3, v[27:28]
	v_add_co_ci_u32_e64 v22, s0, v3, v22, s0
	v_add_co_u32 v23, s0, v2, v23
	v_add_nc_u32_e32 v39, 0x510, v80
	v_add_co_ci_u32_e64 v24, s0, v3, v24, s0
	v_mov_b32_e32 v30, v32
	v_mov_b32_e32 v32, v25
	v_add_co_u32 v25, s0, v2, v26
	v_mov_b32_e32 v10, v34
	v_add_co_ci_u32_e64 v26, s0, v3, v27, s0
	v_mad_u64_u32 v[27:28], null, s2, v39, 0
	v_mov_b32_e32 v34, v36
	v_mad_u64_u32 v[36:37], null, s3, v83, v[10:11]
	v_add_nc_u32_e32 v41, 0x603, v80
	v_lshlrev_b64 v[29:30], 3, v[29:30]
	v_mad_u64_u32 v[37:38], null, s3, v75, v[34:35]
	v_mov_b32_e32 v10, v28
	v_lshlrev_b64 v[31:32], 3, v[31:32]
	v_mov_b32_e32 v34, v36
	v_add_co_u32 v29, s0, v2, v29
	v_add_co_ci_u32_e64 v30, s0, v3, v30, s0
	v_mov_b32_e32 v36, v37
	v_mad_u64_u32 v[37:38], null, s3, v39, v[10:11]
	v_lshlrev_b64 v[33:34], 3, v[33:34]
	v_mad_u64_u32 v[39:40], null, s2, v77, 0
	v_add_co_u32 v31, s0, v2, v31
	v_lshlrev_b64 v[35:36], 3, v[35:36]
	v_mov_b32_e32 v28, v37
	v_mad_u64_u32 v[37:38], null, s2, v41, 0
	v_add_co_ci_u32_e64 v32, s0, v3, v32, s0
	v_add_co_u32 v33, s0, v2, v33
	v_add_co_ci_u32_e64 v34, s0, v3, v34, s0
	v_mov_b32_e32 v10, v38
	v_add_co_u32 v85, s0, v2, v35
	v_mov_b32_e32 v35, v40
	v_add_nc_u32_e32 v45, 0x7e9, v80
	v_mad_u64_u32 v[40:41], null, s3, v41, v[10:11]
	v_add_nc_u32_e32 v46, 0x8dc, v80
	v_add_co_ci_u32_e64 v86, s0, v3, v36, s0
	v_mad_u64_u32 v[41:42], null, s2, v45, 0
	v_mad_u64_u32 v[35:36], null, s3, v77, v[35:36]
	;; [unrolled: 1-line block ×3, first 2 shown]
	v_mov_b32_e32 v38, v40
	v_lshlrev_b64 v[27:28], 3, v[27:28]
	v_mov_b32_e32 v10, v42
	v_add_nc_u32_e32 v50, 0x83a, v80
	v_mov_b32_e32 v40, v35
	v_lshlrev_b64 v[36:37], 3, v[37:38]
	v_mov_b32_e32 v35, v44
	v_add_co_u32 v27, s0, v2, v27
	v_add_co_ci_u32_e64 v28, s0, v3, v28, s0
	v_add_co_u32 v87, s0, v2, v36
	v_mad_u64_u32 v[44:45], null, s3, v45, v[10:11]
	v_mad_u64_u32 v[45:46], null, s3, v46, v[35:36]
	v_add_co_ci_u32_e64 v88, s0, v3, v37, s0
	v_mad_u64_u32 v[37:38], null, s2, v76, 0
	v_lshlrev_b64 v[35:36], 3, v[39:40]
	v_mad_u64_u32 v[39:40], null, s2, v70, 0
	v_mov_b32_e32 v42, v44
	v_mov_b32_e32 v44, v45
	v_mad_u64_u32 v[46:47], null, s2, v50, 0
	v_mov_b32_e32 v10, v38
	v_add_co_u32 v89, s0, v2, v35
	v_mov_b32_e32 v38, v40
	v_add_co_ci_u32_e64 v90, s0, v3, v36, s0
	v_lshlrev_b64 v[35:36], 3, v[41:42]
	v_lshlrev_b64 v[40:41], 3, v[43:44]
	v_mad_u64_u32 v[42:43], null, s3, v76, v[10:11]
	v_mad_u64_u32 v[43:44], null, s3, v70, v[38:39]
	;; [unrolled: 1-line block ×3, first 2 shown]
	v_add_co_u32 v91, s0, v2, v35
	v_mov_b32_e32 v38, v42
	v_add_co_ci_u32_e64 v92, s0, v3, v36, s0
	v_add_co_u32 v93, s0, v2, v40
	v_mov_b32_e32 v10, v45
	v_lshlrev_b64 v[35:36], 3, v[37:38]
	v_mad_u64_u32 v[37:38], null, s2, v82, 0
	v_add_co_ci_u32_e64 v94, s0, v3, v41, s0
	v_mov_b32_e32 v40, v43
	v_mad_u64_u32 v[41:42], null, s3, v64, v[10:11]
	v_add_co_u32 v95, s0, v2, v35
	v_mov_b32_e32 v10, v38
	v_add_co_ci_u32_e64 v96, s0, v3, v36, s0
	v_lshlrev_b64 v[35:36], 3, v[39:40]
	v_mad_u64_u32 v[39:40], null, s2, v72, 0
	v_mov_b32_e32 v45, v41
	v_mad_u64_u32 v[41:42], null, s3, v82, v[10:11]
	v_add_co_u32 v97, s0, v2, v35
	v_add_co_ci_u32_e64 v98, s0, v3, v36, s0
	v_lshlrev_b64 v[35:36], 3, v[44:45]
	v_mov_b32_e32 v10, v40
	v_mad_u64_u32 v[42:43], null, s2, v67, 0
	v_mov_b32_e32 v38, v41
	v_add_nc_u32_e32 v51, 0x92d, v80
	v_add_co_u32 v99, s0, v2, v35
	v_mad_u64_u32 v[44:45], null, s3, v72, v[10:11]
	v_add_co_ci_u32_e64 v100, s0, v3, v36, s0
	v_lshlrev_b64 v[35:36], 3, v[37:38]
	v_mad_u64_u32 v[37:38], null, s2, v84, 0
	v_mov_b32_e32 v10, v43
	v_mov_b32_e32 v40, v44
	v_mad_u64_u32 v[48:49], null, s2, v51, 0
	v_add_co_u32 v101, s0, v2, v35
	v_mad_u64_u32 v[43:44], null, s3, v67, v[10:11]
	v_mad_u64_u32 v[44:45], null, s2, v74, 0
	v_mov_b32_e32 v10, v38
	v_add_co_ci_u32_e64 v102, s0, v3, v36, s0
	v_lshlrev_b64 v[35:36], 3, v[39:40]
	v_mad_u64_u32 v[39:40], null, s3, v84, v[10:11]
	v_mov_b32_e32 v38, v45
	v_mov_b32_e32 v10, v47
	v_add_co_u32 v103, s0, v2, v35
	v_add_co_ci_u32_e64 v104, s0, v3, v36, s0
	v_mad_u64_u32 v[40:41], null, s3, v74, v[38:39]
	v_mov_b32_e32 v38, v39
	v_mov_b32_e32 v39, v49
	v_lshlrev_b64 v[35:36], 3, v[42:43]
	v_lshlrev_b64 v[37:38], 3, v[37:38]
	v_mov_b32_e32 v45, v40
	v_mad_u64_u32 v[40:41], null, s3, v50, v[10:11]
	v_add_co_u32 v105, s0, v2, v35
	v_add_co_ci_u32_e64 v106, s0, v3, v36, s0
	v_lshlrev_b64 v[35:36], 3, v[44:45]
	v_add_co_u32 v107, s0, v2, v37
	v_mad_u64_u32 v[41:42], null, s3, v51, v[39:40]
	v_mov_b32_e32 v47, v40
	v_add_co_ci_u32_e64 v108, s0, v3, v38, s0
	v_add_co_u32 v109, s0, v2, v35
	v_lshlrev_b64 v[37:38], 3, v[46:47]
	v_mov_b32_e32 v49, v41
	v_add_co_ci_u32_e64 v110, s0, v3, v36, s0
	v_lshlrev_b64 v[35:36], 3, v[48:49]
	v_add_co_u32 v111, s0, v2, v37
	v_add_co_ci_u32_e64 v112, s0, v3, v38, s0
	v_add_co_u32 v113, s0, v2, v35
	v_add_co_ci_u32_e64 v114, s0, v3, v36, s0
	s_clause 0x1d
	global_load_dwordx2 v[36:37], v[4:5], off
	global_load_dwordx2 v[45:46], v[6:7], off
	;; [unrolled: 1-line block ×30, first 2 shown]
	v_mov_b32_e32 v93, v63
	v_mov_b32_e32 v92, v64
	;; [unrolled: 1-line block ×9, first 2 shown]
.LBB0_13:
	s_or_b32 exec_lo, exec_lo, s1
	s_waitcnt vmcnt(23)
	v_add_f32_e32 v44, v55, v61
	s_waitcnt vmcnt(21)
	v_sub_f32_e32 v95, v60, v58
	v_sub_f32_e32 v98, v57, v55
	v_add_f32_e32 v99, v57, v59
	v_add_f32_e32 v94, v59, v36
	v_fma_f32 v97, -0.5, v44, v36
	v_sub_f32_e32 v44, v59, v61
	v_sub_f32_e32 v96, v62, v56
	v_fmac_f32_e32 v36, -0.5, v99
	v_add_f32_e32 v94, v61, v94
	v_fmamk_f32 v100, v95, 0x3f737871, v97
	v_fmac_f32_e32 v97, 0xbf737871, v95
	v_add_f32_e32 v44, v98, v44
	v_add_f32_e32 v98, v60, v37
	v_fmamk_f32 v99, v96, 0xbf737871, v36
	v_fmac_f32_e32 v100, 0x3f167918, v96
	v_fmac_f32_e32 v97, 0xbf167918, v96
	;; [unrolled: 1-line block ×3, first 2 shown]
	v_add_f32_e32 v96, v62, v98
	v_sub_f32_e32 v101, v55, v57
	v_fmac_f32_e32 v100, 0x3e9e377a, v44
	v_fmac_f32_e32 v97, 0x3e9e377a, v44
	v_sub_f32_e32 v44, v61, v59
	v_fmac_f32_e32 v99, 0x3f167918, v95
	v_fmac_f32_e32 v36, 0xbf167918, v95
	v_add_f32_e32 v95, v56, v96
	v_add_f32_e32 v94, v55, v94
	;; [unrolled: 1-line block ×5, first 2 shown]
	v_sub_f32_e32 v116, v61, v55
	v_add_f32_e32 v115, v58, v95
	v_sub_f32_e32 v55, v56, v58
	v_sub_f32_e32 v56, v58, v56
	v_add_f32_e32 v58, v49, v53
	v_add_f32_e32 v94, v57, v94
	v_sub_f32_e32 v119, v59, v57
	v_sub_f32_e32 v57, v60, v62
	v_fma_f32 v114, -0.5, v98, v37
	v_fma_f32 v120, -0.5, v58, v45
	s_waitcnt vmcnt(20)
	v_sub_f32_e32 v58, v52, v48
	v_fmac_f32_e32 v37, -0.5, v101
	v_fmac_f32_e32 v99, 0x3e9e377a, v44
	v_fmac_f32_e32 v36, 0x3e9e377a, v44
	v_sub_f32_e32 v44, v62, v60
	v_add_f32_e32 v121, v56, v57
	v_fmamk_f32 v56, v58, 0x3f737871, v120
	v_sub_f32_e32 v57, v54, v50
	v_sub_f32_e32 v59, v51, v53
	;; [unrolled: 1-line block ×3, first 2 shown]
	v_fmac_f32_e32 v120, 0xbf737871, v58
	v_add_f32_e32 v61, v47, v51
	v_fmamk_f32 v117, v116, 0x3f737871, v37
	v_add_f32_e32 v44, v55, v44
	v_fmac_f32_e32 v37, 0xbf737871, v116
	v_add_f32_e32 v55, v51, v45
	v_fmac_f32_e32 v56, 0x3f167918, v57
	v_add_f32_e32 v59, v60, v59
	v_fmac_f32_e32 v120, 0xbf167918, v57
	v_fmac_f32_e32 v45, -0.5, v61
	v_fmac_f32_e32 v117, 0xbf167918, v119
	v_fmac_f32_e32 v37, 0x3f167918, v119
	v_add_f32_e32 v55, v53, v55
	v_fmac_f32_e32 v56, 0x3e9e377a, v59
	v_fmac_f32_e32 v120, 0x3e9e377a, v59
	v_fmamk_f32 v59, v57, 0xbf737871, v45
	v_fmac_f32_e32 v45, 0x3f737871, v57
	v_fmac_f32_e32 v117, 0x3e9e377a, v44
	v_add_f32_e32 v55, v49, v55
	v_fmac_f32_e32 v37, 0x3e9e377a, v44
	v_add_f32_e32 v44, v50, v54
	v_sub_f32_e32 v60, v53, v51
	v_sub_f32_e32 v61, v49, v47
	v_add_f32_e32 v57, v52, v46
	v_fmac_f32_e32 v59, 0x3f167918, v58
	v_fmac_f32_e32 v45, 0xbf167918, v58
	v_add_f32_e32 v58, v48, v52
	v_add_f32_e32 v55, v47, v55
	v_fma_f32 v122, -0.5, v44, v46
	v_sub_f32_e32 v44, v51, v47
	v_add_f32_e32 v47, v61, v60
	v_add_f32_e32 v51, v54, v57
	v_sub_f32_e32 v49, v53, v49
	v_fmac_f32_e32 v46, -0.5, v58
	v_fmamk_f32 v57, v44, 0xbf737871, v122
	v_fmac_f32_e32 v59, 0x3e9e377a, v47
	v_fmac_f32_e32 v45, 0x3e9e377a, v47
	v_add_f32_e32 v47, v50, v51
	v_sub_f32_e32 v51, v52, v54
	v_sub_f32_e32 v53, v48, v50
	v_fmac_f32_e32 v122, 0x3f737871, v44
	v_fmamk_f32 v58, v49, 0x3f737871, v46
	v_sub_f32_e32 v52, v54, v52
	v_sub_f32_e32 v50, v50, v48
	v_fmac_f32_e32 v46, 0xbf737871, v49
	v_fmac_f32_e32 v57, 0xbf167918, v49
	v_add_f32_e32 v51, v53, v51
	v_fmac_f32_e32 v122, 0x3f167918, v49
	v_add_f32_e32 v49, v50, v52
	v_fmac_f32_e32 v46, 0x3f167918, v44
	v_fmac_f32_e32 v58, 0xbf167918, v44
	v_add_f32_e32 v123, v48, v47
	v_fmac_f32_e32 v122, 0x3e9e377a, v51
	v_mul_f32_e32 v44, 0x3e9e377a, v45
	v_fmac_f32_e32 v46, 0x3e9e377a, v49
	v_mul_f32_e32 v48, 0x3f4f1bbd, v120
	;; [unrolled: 2-line block ×3, first 2 shown]
	v_add_f32_e32 v50, v55, v94
	v_fma_f32 v60, 0x3f737871, v46, -v44
	v_fma_f32 v61, 0x3f167918, v122, -v48
	v_mul_f32_e32 v46, 0x3e9e377a, v46
	s_waitcnt vmcnt(17)
	v_add_f32_e32 v48, v30, v18
	s_waitcnt vmcnt(13)
	v_add_f32_e32 v49, v28, v32
	v_fmac_f32_e32 v57, 0x3e9e377a, v51
	v_mul_f32_e32 v47, 0x3f4f1bbd, v56
	v_fma_f32 v126, 0xbf737871, v45, -v46
	v_sub_f32_e32 v45, v94, v55
	v_add_f32_e32 v55, v32, v48
	v_fmac_f32_e32 v54, 0x3f737871, v58
	v_mul_f32_e32 v124, 0xbf167918, v56
	v_add_f32_e32 v53, v36, v60
	v_mul_f32_e32 v125, 0xbf737871, v59
	v_fma_f32 v62, -0.5, v49, v18
	s_waitcnt vmcnt(11)
	v_sub_f32_e32 v56, v31, v27
	v_sub_f32_e32 v46, v36, v60
	v_add_f32_e32 v36, v28, v55
	v_add_f32_e32 v55, v26, v30
	v_fmac_f32_e32 v47, 0x3f167918, v57
	v_add_f32_e32 v52, v99, v54
	v_fmac_f32_e32 v124, 0x3f4f1bbd, v57
	v_fmac_f32_e32 v125, 0x3e9e377a, v58
	v_sub_f32_e32 v49, v99, v54
	v_fmamk_f32 v54, v56, 0x3f737871, v62
	v_sub_f32_e32 v57, v33, v29
	v_sub_f32_e32 v58, v30, v32
	;; [unrolled: 1-line block ×3, first 2 shown]
	v_fmac_f32_e32 v18, -0.5, v55
	v_fmac_f32_e32 v62, 0xbf737871, v56
	v_add_f32_e32 v51, v100, v47
	v_add_f32_e32 v44, v97, v61
	v_sub_f32_e32 v48, v100, v47
	v_sub_f32_e32 v47, v97, v61
	v_fmac_f32_e32 v54, 0x3f167918, v57
	v_add_f32_e32 v55, v59, v58
	v_fmamk_f32 v58, v57, 0xbf737871, v18
	v_sub_f32_e32 v59, v32, v30
	v_sub_f32_e32 v60, v28, v26
	v_fmac_f32_e32 v62, 0xbf167918, v57
	v_add_f32_e32 v61, v34, v38
	v_fmac_f32_e32 v18, 0x3f737871, v57
	v_add_f32_e32 v57, v42, v22
	;; [unrolled: 2-line block ×3, first 2 shown]
	v_fma_f32 v127, -0.5, v61, v22
	s_waitcnt vmcnt(10)
	v_sub_f32_e32 v60, v43, v25
	v_fmac_f32_e32 v62, 0x3e9e377a, v55
	v_add_f32_e32 v55, v38, v57
	v_fmac_f32_e32 v58, 0x3f167918, v56
	v_fmac_f32_e32 v18, 0xbf167918, v56
	v_fmamk_f32 v128, v60, 0x3f737871, v127
	v_sub_f32_e32 v56, v39, v35
	v_sub_f32_e32 v57, v42, v38
	;; [unrolled: 1-line block ×3, first 2 shown]
	v_fmac_f32_e32 v127, 0xbf737871, v60
	v_add_f32_e32 v55, v34, v55
	v_add_f32_e32 v94, v24, v42
	v_fmac_f32_e32 v58, 0x3e9e377a, v59
	v_fmac_f32_e32 v128, 0x3f167918, v56
	v_add_f32_e32 v57, v61, v57
	v_fmac_f32_e32 v127, 0xbf167918, v56
	v_fmac_f32_e32 v18, 0x3e9e377a, v59
	v_fmac_f32_e32 v22, -0.5, v94
	v_add_f32_e32 v59, v24, v55
	v_add_f32_e32 v55, v35, v39
	v_fmac_f32_e32 v128, 0x3e9e377a, v57
	v_fmac_f32_e32 v127, 0x3e9e377a, v57
	v_fmamk_f32 v129, v56, 0xbf737871, v22
	v_sub_f32_e32 v57, v38, v42
	v_sub_f32_e32 v61, v34, v24
	v_fmac_f32_e32 v22, 0x3f737871, v56
	v_fma_f32 v130, -0.5, v55, v23
	v_add_f32_e32 v55, v25, v43
	v_sub_f32_e32 v24, v42, v24
	v_fmac_f32_e32 v129, 0x3f167918, v60
	v_add_f32_e32 v42, v61, v57
	v_fmac_f32_e32 v22, 0xbf167918, v60
	v_sub_f32_e32 v34, v38, v34
	v_add_f32_e32 v133, v43, v23
	v_fmac_f32_e32 v23, -0.5, v55
	v_fmamk_f32 v131, v24, 0xbf737871, v130
	v_fmac_f32_e32 v129, 0x3e9e377a, v42
	v_fmac_f32_e32 v22, 0x3e9e377a, v42
	v_sub_f32_e32 v38, v43, v39
	v_sub_f32_e32 v42, v25, v35
	v_fmamk_f32 v132, v34, 0x3f737871, v23
	v_sub_f32_e32 v43, v39, v43
	v_sub_f32_e32 v55, v35, v25
	v_fmac_f32_e32 v131, 0xbf167918, v34
	v_fmac_f32_e32 v23, 0xbf737871, v34
	v_add_f32_e32 v38, v42, v38
	v_fmac_f32_e32 v130, 0x3f737871, v24
	v_fmac_f32_e32 v132, 0xbf167918, v24
	v_add_f32_e32 v42, v55, v43
	v_fmac_f32_e32 v23, 0x3f167918, v24
	v_fmac_f32_e32 v131, 0x3e9e377a, v38
	v_mul_f32_e32 v24, 0x3f4f1bbd, v128
	v_fmac_f32_e32 v130, 0x3f167918, v34
	v_fmac_f32_e32 v132, 0x3e9e377a, v42
	v_mul_f32_e32 v34, 0x3e9e377a, v129
	;; [unrolled: 3-line block ×4, first 2 shown]
	v_add_f32_e32 v43, v54, v24
	v_fma_f32 v38, 0x3f737871, v23, -v55
	v_sub_f32_e32 v54, v54, v24
	v_sub_f32_e32 v55, v58, v34
	v_mul_u32_u24_e32 v24, 10, v80
	v_add_f32_e32 v56, v58, v34
	v_fma_f32 v34, 0x3f167918, v130, -v57
	s_waitcnt vmcnt(3)
	v_add_f32_e32 v60, v8, v14
	v_add_f32_e32 v36, v26, v36
	v_lshl_add_u32 v134, v24, 2, 0
	v_add_f32_e32 v57, v18, v38
	v_add_f32_e32 v58, v62, v34
	v_sub_f32_e32 v61, v62, v34
	v_fma_f32 v24, -0.5, v60, v2
	s_waitcnt vmcnt(1)
	v_sub_f32_e32 v34, v13, v7
	v_add_f32_e32 v42, v59, v36
	v_sub_f32_e32 v59, v36, v59
	ds_write2_b64 v134, v[50:51], v[52:53] offset1:1
	v_sub_f32_e32 v36, v12, v14
	v_sub_f32_e32 v50, v6, v8
	v_add_f32_e32 v51, v6, v12
	v_sub_f32_e32 v60, v18, v38
	v_fmamk_f32 v18, v34, 0x3f737871, v24
	v_sub_f32_e32 v38, v15, v9
	v_fmac_f32_e32 v24, 0xbf737871, v34
	v_add_f32_e32 v52, v12, v2
	v_add_f32_e32 v36, v50, v36
	v_fmac_f32_e32 v2, -0.5, v51
	v_fmac_f32_e32 v18, 0x3f167918, v38
	v_fmac_f32_e32 v24, 0xbf167918, v38
	v_add_f32_e32 v62, v16, v20
	v_sub_f32_e32 v50, v14, v12
	v_sub_f32_e32 v51, v8, v6
	v_fmamk_f32 v53, v38, 0xbf737871, v2
	v_fmac_f32_e32 v18, 0x3e9e377a, v36
	v_fmac_f32_e32 v2, 0x3f737871, v38
	;; [unrolled: 1-line block ×3, first 2 shown]
	v_fma_f32 v139, -0.5, v62, v4
	s_waitcnt vmcnt(0)
	v_sub_f32_e32 v36, v41, v11
	v_add_f32_e32 v62, v10, v40
	v_add_f32_e32 v38, v51, v50
	v_fmac_f32_e32 v53, 0x3f167918, v34
	v_fmac_f32_e32 v2, 0xbf167918, v34
	v_sub_f32_e32 v34, v40, v20
	v_sub_f32_e32 v50, v10, v16
	v_fmamk_f32 v140, v36, 0x3f737871, v139
	v_sub_f32_e32 v51, v21, v17
	v_fmac_f32_e32 v139, 0xbf737871, v36
	v_add_f32_e32 v94, v40, v4
	v_fmac_f32_e32 v4, -0.5, v62
	v_fmac_f32_e32 v53, 0x3e9e377a, v38
	v_add_f32_e32 v34, v50, v34
	v_fmac_f32_e32 v140, 0x3f167918, v51
	v_fmac_f32_e32 v139, 0xbf167918, v51
	ds_write2_b64 v134, v[44:45], v[48:49] offset0:2 offset1:3
	v_fmac_f32_e32 v2, 0x3e9e377a, v38
	v_fmamk_f32 v141, v51, 0xbf737871, v4
	v_sub_f32_e32 v38, v20, v40
	v_sub_f32_e32 v44, v16, v10
	v_fmac_f32_e32 v4, 0x3f737871, v51
	v_fmac_f32_e32 v140, 0x3e9e377a, v34
	;; [unrolled: 1-line block ×3, first 2 shown]
	v_mul_i32_i24_e32 v34, 10, v86
	v_fmac_f32_e32 v141, 0x3f167918, v36
	v_add_f32_e32 v38, v44, v38
	v_add_f32_e32 v44, v17, v21
	v_fmac_f32_e32 v4, 0xbf167918, v36
	v_add_f32_e32 v36, v11, v41
	v_lshl_add_u32 v34, v34, 2, 0
	v_add_f32_e32 v142, v41, v5
	v_fma_f32 v143, -0.5, v44, v5
	ds_write_b64 v134, v[46:47] offset:32
	v_fmac_f32_e32 v5, -0.5, v36
	v_sub_f32_e32 v36, v20, v16
	ds_write2_b64 v34, v[42:43], v[56:57] offset1:1
	v_sub_f32_e32 v42, v41, v21
	v_sub_f32_e32 v40, v40, v10
	;; [unrolled: 1-line block ×4, first 2 shown]
	v_fmamk_f32 v144, v36, 0x3f737871, v5
	v_fmac_f32_e32 v5, 0xbf737871, v36
	v_sub_f32_e32 v43, v11, v17
	v_add_f32_e32 v20, v20, v94
	v_add_f32_e32 v41, v44, v41
	v_fmac_f32_e32 v4, 0x3e9e377a, v38
	v_fmac_f32_e32 v5, 0x3f167918, v40
	v_add_f32_e32 v42, v43, v42
	v_add_f32_e32 v43, v14, v52
	;; [unrolled: 1-line block ×3, first 2 shown]
	v_fmac_f32_e32 v141, 0x3e9e377a, v38
	v_fmac_f32_e32 v5, 0x3e9e377a, v41
	v_mul_f32_e32 v38, 0x3e9e377a, v4
	v_fmamk_f32 v145, v119, 0xbf737871, v114
	v_add_f32_e32 v43, v8, v43
	v_add_f32_e32 v10, v10, v16
	v_fmac_f32_e32 v114, 0x3f737871, v119
	v_fma_f32 v16, 0x3f737871, v5, -v38
	v_fmac_f32_e32 v145, 0xbf167918, v116
	v_add_f32_e32 v44, v6, v43
	v_add_f32_e32 v138, v37, v126
	v_fmac_f32_e32 v114, 0x3f167918, v116
	v_add_f32_e32 v43, v2, v16
	v_sub_f32_e32 v48, v2, v16
	v_mul_f32_e32 v16, 0x3f4f1bbd, v122
	v_add_f32_e32 v39, v39, v133
	v_fmac_f32_e32 v114, 0x3e9e377a, v121
	v_sub_f32_e32 v119, v37, v126
	v_add_f32_e32 v37, v31, v19
	v_fma_f32 v16, 0xbf167918, v120, -v16
	v_fmac_f32_e32 v145, 0x3e9e377a, v121
	v_sub_f32_e32 v28, v32, v28
	v_sub_f32_e32 v32, v31, v33
	;; [unrolled: 1-line block ×3, first 2 shown]
	v_add_f32_e32 v121, v114, v16
	v_sub_f32_e32 v120, v114, v16
	v_add_f32_e32 v16, v35, v39
	v_add_f32_e32 v35, v33, v37
	;; [unrolled: 1-line block ×3, first 2 shown]
	v_sub_f32_e32 v33, v33, v31
	v_add_f32_e32 v31, v27, v31
	v_mul_f32_e32 v23, 0x3e9e377a, v23
	v_add_f32_e32 v30, v29, v35
	v_fma_f32 v37, -0.5, v37, v19
	v_sub_f32_e32 v35, v27, v29
	v_fmac_f32_e32 v19, -0.5, v31
	v_sub_f32_e32 v29, v29, v27
	v_add_f32_e32 v39, v27, v30
	v_add_f32_e32 v16, v25, v16
	v_fma_f32 v23, 0xbf737871, v22, -v23
	v_fmamk_f32 v30, v28, 0x3f737871, v19
	v_fmac_f32_e32 v19, 0xbf737871, v28
	v_fmamk_f32 v25, v26, 0xbf737871, v37
	v_fmac_f32_e32 v37, 0x3f737871, v26
	v_add_f32_e32 v22, v29, v33
	v_add_f32_e32 v114, v21, v142
	v_fmac_f32_e32 v19, 0x3f167918, v26
	v_add_f32_e32 v21, v35, v32
	v_fmac_f32_e32 v25, 0xbf167918, v28
	v_fmac_f32_e32 v37, 0x3f167918, v28
	v_fmac_f32_e32 v30, 0xbf167918, v26
	v_mul_f32_e32 v26, 0xbf737871, v129
	v_mul_f32_e32 v28, 0xbf167918, v128
	v_fmac_f32_e32 v19, 0x3e9e377a, v22
	v_fmac_f32_e32 v25, 0x3e9e377a, v21
	;; [unrolled: 1-line block ×3, first 2 shown]
	v_mul_f32_e32 v21, 0x3f4f1bbd, v130
	v_fmac_f32_e32 v30, 0x3e9e377a, v22
	v_fmac_f32_e32 v26, 0x3e9e377a, v132
	;; [unrolled: 1-line block ×3, first 2 shown]
	v_add_f32_e32 v22, v19, v23
	v_sub_f32_e32 v27, v19, v23
	v_add_f32_e32 v19, v13, v3
	v_fma_f32 v33, 0xbf167918, v127, -v21
	v_add_f32_e32 v21, v30, v26
	v_sub_f32_e32 v30, v30, v26
	v_sub_f32_e32 v29, v25, v28
	v_add_f32_e32 v26, v25, v28
	v_add_f32_e32 v25, v16, v39
	v_sub_f32_e32 v32, v39, v16
	v_add_f32_e32 v16, v17, v114
	v_add_f32_e32 v17, v15, v19
	;; [unrolled: 1-line block ×3, first 2 shown]
	v_sub_f32_e32 v8, v14, v8
	v_sub_f32_e32 v14, v13, v15
	;; [unrolled: 1-line block ×3, first 2 shown]
	v_add_f32_e32 v13, v7, v13
	v_fmamk_f32 v146, v40, 0xbf737871, v143
	v_fmac_f32_e32 v143, 0x3f737871, v40
	v_sub_f32_e32 v6, v12, v6
	v_add_f32_e32 v12, v9, v17
	v_fma_f32 v19, -0.5, v19, v3
	v_mul_f32_e32 v5, 0x3e9e377a, v5
	v_fmac_f32_e32 v3, -0.5, v13
	v_fmac_f32_e32 v144, 0xbf167918, v40
	v_fmac_f32_e32 v143, 0x3f167918, v36
	v_sub_f32_e32 v17, v7, v9
	v_sub_f32_e32 v9, v9, v7
	v_add_f32_e32 v23, v7, v12
	v_fmamk_f32 v7, v6, 0xbf737871, v19
	v_fmac_f32_e32 v19, 0x3f737871, v6
	v_fma_f32 v5, 0xbf737871, v4, -v5
	v_fmamk_f32 v4, v8, 0x3f737871, v3
	v_fmac_f32_e32 v144, 0x3e9e377a, v41
	v_fmac_f32_e32 v143, 0x3e9e377a, v42
	v_add_f32_e32 v16, v11, v16
	v_add_f32_e32 v11, v17, v14
	v_fmac_f32_e32 v7, 0xbf167918, v8
	v_fmac_f32_e32 v19, 0x3f167918, v8
	;; [unrolled: 1-line block ×3, first 2 shown]
	v_add_f32_e32 v8, v9, v15
	v_mul_f32_e32 v9, 0xbf737871, v141
	v_fmac_f32_e32 v4, 0xbf167918, v6
	v_and_b32_e32 v17, 0xff, v80
	v_fmac_f32_e32 v3, 0x3f167918, v6
	v_mul_f32_e32 v6, 0x3f4f1bbd, v143
	v_fmac_f32_e32 v9, 0x3e9e377a, v144
	v_fmac_f32_e32 v4, 0x3e9e377a, v8
	v_mul_lo_u16 v15, 0xcd, v17
	v_fmac_f32_e32 v146, 0xbf167918, v36
	v_mul_f32_e32 v38, 0x3f4f1bbd, v139
	v_fmac_f32_e32 v19, 0x3e9e377a, v11
	v_fmac_f32_e32 v3, 0x3e9e377a, v8
	v_fma_f32 v6, 0xbf167918, v139, -v6
	v_sub_f32_e32 v12, v4, v9
	v_add_f32_e32 v13, v4, v9
	v_lshrrev_b16 v4, 11, v15
	v_mul_f32_e32 v36, 0x3e9e377a, v141
	v_fmac_f32_e32 v146, 0x3e9e377a, v42
	v_mul_f32_e32 v20, 0x3f4f1bbd, v140
	v_fma_f32 v38, 0x3f167918, v143, -v38
	v_add_f32_e32 v135, v123, v115
	v_sub_f32_e32 v122, v115, v123
	v_add_f32_e32 v14, v3, v5
	v_sub_f32_e32 v114, v3, v5
	v_add_f32_e32 v15, v19, v6
	v_mul_lo_u16 v3, v4, 10
	v_sub_f32_e32 v115, v19, v6
	v_and_b32_e32 v19, 0xff, v86
	v_fmac_f32_e32 v36, 0x3f737871, v144
	v_add_f32_e32 v40, v10, v44
	v_sub_f32_e32 v45, v44, v10
	v_mul_i32_i24_e32 v10, 10, v85
	v_fmac_f32_e32 v7, 0x3e9e377a, v11
	v_mul_f32_e32 v11, 0xbf167918, v140
	v_fmac_f32_e32 v20, 0x3f167918, v146
	v_add_f32_e32 v44, v24, v38
	v_sub_f32_e32 v49, v24, v38
	v_mad_i32_i24 v38, 0xffffffdc, v80, v134
	v_sub_nc_u16 v6, v80, v3
	v_mul_lo_u16 v3, 0xcd, v19
	v_add_f32_e32 v42, v53, v36
	v_sub_f32_e32 v47, v53, v36
	v_lshl_add_u32 v36, v10, 2, 0
	v_fmac_f32_e32 v11, 0x3f4f1bbd, v146
	v_add_f32_e32 v41, v18, v20
	v_add_f32_e32 v136, v145, v124
	;; [unrolled: 1-line block ×3, first 2 shown]
	v_mad_i32_i24 v109, 0xffffffdc, v86, v34
	v_add_nc_u32_e32 v107, 0x2200, v38
	v_sub_f32_e32 v116, v145, v124
	v_sub_f32_e32 v117, v117, v125
	v_add_f32_e32 v31, v37, v33
	v_lshrrev_b16 v3, 11, v3
	v_sub_f32_e32 v46, v18, v20
	ds_write_b64 v34, v[60:61] offset:32
	v_mad_i32_i24 v108, 0xffffffdc, v85, v36
	v_lshl_add_u32 v60, v87, 2, 0
	v_sub_f32_e32 v28, v37, v33
	v_lshl_add_u32 v94, v88, 2, 0
	v_add_f32_e32 v8, v7, v11
	v_sub_f32_e32 v11, v7, v11
	v_add_f32_e32 v7, v16, v23
	v_lshl_add_u32 v97, v89, 2, 0
	v_sub_f32_e32 v16, v23, v16
	v_lshl_add_u32 v98, v90, 2, 0
	ds_write2_b64 v34, v[58:59], v[54:55] offset0:2 offset1:3
	ds_write2_b64 v36, v[40:41], v[42:43] offset1:1
	ds_write2_b64 v36, v[44:45], v[46:47] offset0:2 offset1:3
	ds_write_b64 v36, v[48:49] offset:32
	s_waitcnt lgkmcnt(0)
	s_barrier
	buffer_gl0_inv
	v_add_nc_u32_e32 v61, 0xc00, v38
	v_add_nc_u32_e32 v62, 0x1800, v38
	ds_read_b32 v113, v109
	ds_read_b32 v111, v108
	v_add_nc_u32_e32 v95, 0xe00, v38
	v_add_nc_u32_e32 v96, 0x1a00, v38
	;; [unrolled: 1-line block ×6, first 2 shown]
	v_lshl_add_u32 v101, v91, 2, 0
	v_lshl_add_u32 v102, v92, 2, 0
	v_add_nc_u32_e32 v106, 0x1600, v38
	v_lshl_add_u32 v105, v93, 2, 0
	ds_read_b32 v118, v38
	ds_read_b32 v112, v60
	;; [unrolled: 1-line block ×8, first 2 shown]
	ds_read2_b32 v[58:59], v61 offset0:42 offset1:123
	ds_read2_b32 v[56:57], v62 offset0:84 offset1:165
	;; [unrolled: 1-line block ×10, first 2 shown]
	s_waitcnt lgkmcnt(0)
	s_barrier
	buffer_gl0_inv
	ds_write2_b64 v134, v[135:136], v[137:138] offset1:1
	ds_write2_b64 v134, v[121:122], v[116:117] offset0:2 offset1:3
	ds_write_b64 v134, v[119:120] offset:32
	ds_write2_b64 v34, v[25:26], v[21:22] offset1:1
	ds_write2_b64 v34, v[31:32], v[29:30] offset0:2 offset1:3
	ds_write_b64 v34, v[27:28] offset:32
	ds_write2_b64 v36, v[7:8], v[13:14] offset1:1
	ds_write2_b64 v36, v[15:16], v[11:12] offset0:2 offset1:3
	v_and_b32_e32 v16, 0xff, v85
	v_mul_lo_u16 v7, v3, 10
	v_mov_b32_e32 v26, 4
	v_mov_b32_e32 v23, 0xcccd
	ds_write_b64 v36, v[114:115] offset:32
	v_mul_lo_u16 v8, 0xcd, v16
	v_sub_nc_u16 v11, v86, v7
	v_lshlrev_b32_sdwa v5, v26, v6 dst_sel:DWORD dst_unused:UNUSED_PAD src0_sel:DWORD src1_sel:BYTE_0
	s_waitcnt lgkmcnt(0)
	s_barrier
	v_lshrrev_b16 v7, 11, v8
	v_mul_u32_u24_sdwa v8, v87, v23 dst_sel:DWORD dst_unused:UNUSED_PAD src0_sel:WORD_0 src1_sel:DWORD
	v_lshlrev_b32_sdwa v9, v26, v11 dst_sel:DWORD dst_unused:UNUSED_PAD src0_sel:DWORD src1_sel:BYTE_0
	buffer_gl0_inv
	global_load_dwordx4 v[27:30], v5, s[8:9]
	v_mul_lo_u16 v12, v7, 10
	v_mul_u32_u24_sdwa v32, v92, v23 dst_sel:DWORD dst_unused:UNUSED_PAD src0_sel:WORD_0 src1_sel:DWORD
	global_load_dwordx4 v[114:117], v9, s[8:9]
	v_lshrrev_b32_e32 v5, 19, v8
	v_mul_lo_u16 v17, 0x89, v17
	v_sub_nc_u16 v8, v85, v12
	v_mul_u32_u24_sdwa v12, v88, v23 dst_sel:DWORD dst_unused:UNUSED_PAD src0_sel:WORD_0 src1_sel:DWORD
	v_lshrrev_b32_e32 v159, 19, v32
	v_mul_lo_u16 v9, v5, 10
	v_mul_u32_u24_e32 v5, 0x78, v5
	v_lshlrev_b32_sdwa v14, v26, v8 dst_sel:DWORD dst_unused:UNUSED_PAD src0_sel:DWORD src1_sel:BYTE_0
	v_mul_lo_u16 v19, 0x89, v19
	v_cmp_gt_u32_e64 s0, 9, v80
	v_sub_nc_u16 v13, v87, v9
	v_lshrrev_b32_e32 v9, 19, v12
	v_mul_u32_u24_sdwa v12, v89, v23 dst_sel:DWORD dst_unused:UNUSED_PAD src0_sel:WORD_0 src1_sel:DWORD
	global_load_dwordx4 v[119:122], v14, s[8:9]
	v_mul_lo_u16 v15, v9, 10
	v_lshrrev_b32_e32 v12, 19, v12
	v_sub_nc_u16 v15, v88, v15
	v_mul_lo_u16 v21, v12, 10
	v_lshlrev_b32_sdwa v25, v26, v15 dst_sel:DWORD dst_unused:UNUSED_PAD src0_sel:DWORD src1_sel:WORD_0
	v_sub_nc_u16 v22, v89, v21
	v_mul_u32_u24_sdwa v21, v91, v23 dst_sel:DWORD dst_unused:UNUSED_PAD src0_sel:WORD_0 src1_sel:DWORD
	global_load_dwordx4 v[129:132], v25, s[8:9]
	v_lshlrev_b32_sdwa v14, v26, v13 dst_sel:DWORD dst_unused:UNUSED_PAD src0_sel:DWORD src1_sel:WORD_0
	v_lshlrev_b32_sdwa v31, v26, v22 dst_sel:DWORD dst_unused:UNUSED_PAD src0_sel:DWORD src1_sel:WORD_0
	v_lshrrev_b32_e32 v21, 19, v21
	s_clause 0x1
	global_load_dwordx4 v[125:128], v14, s[8:9]
	global_load_dwordx4 v[133:136], v31, s[8:9]
	v_mul_u32_u24_sdwa v14, v90, v23 dst_sel:DWORD dst_unused:UNUSED_PAD src0_sel:WORD_0 src1_sel:DWORD
	v_mul_lo_u16 v31, v21, 10
	v_mul_u32_u24_sdwa v23, v93, v23 dst_sel:DWORD dst_unused:UNUSED_PAD src0_sel:WORD_0 src1_sel:DWORD
	v_lshrrev_b32_e32 v14, 19, v14
	v_sub_nc_u16 v160, v91, v31
	v_mul_lo_u16 v31, v159, 10
	v_lshrrev_b32_e32 v23, 19, v23
	v_mul_lo_u16 v25, v14, 10
	v_sub_nc_u16 v161, v92, v31
	v_lshlrev_b32_sdwa v31, v26, v160 dst_sel:DWORD dst_unused:UNUSED_PAD src0_sel:DWORD src1_sel:WORD_0
	v_sub_nc_u16 v25, v90, v25
	v_lshlrev_b32_sdwa v33, v26, v161 dst_sel:DWORD dst_unused:UNUSED_PAD src0_sel:DWORD src1_sel:WORD_0
	global_load_dwordx4 v[141:144], v31, s[8:9]
	v_lshlrev_b32_sdwa v32, v26, v25 dst_sel:DWORD dst_unused:UNUSED_PAD src0_sel:DWORD src1_sel:WORD_0
	s_clause 0x1
	global_load_dwordx4 v[145:148], v33, s[8:9]
	global_load_dwordx4 v[137:140], v32, s[8:9]
	v_mul_lo_u16 v32, v23, 10
	v_sub_nc_u16 v162, v93, v32
	v_lshlrev_b32_sdwa v31, v26, v162 dst_sel:DWORD dst_unused:UNUSED_PAD src0_sel:DWORD src1_sel:WORD_0
	global_load_dwordx4 v[149:152], v31, s[8:9]
	ds_read2_b32 v[31:32], v61 offset0:42 offset1:123
	ds_read2_b32 v[153:154], v62 offset0:84 offset1:165
	;; [unrolled: 1-line block ×4, first 2 shown]
	s_waitcnt vmcnt(9) lgkmcnt(3)
	v_mul_f32_e32 v33, v31, v28
	v_mul_f32_e32 v163, v58, v28
	s_waitcnt lgkmcnt(2)
	v_mul_f32_e32 v28, v153, v30
	v_mul_f32_e32 v164, v56, v30
	v_fma_f32 v165, v58, v27, -v33
	v_fmac_f32_e32 v163, v31, v27
	s_waitcnt vmcnt(8)
	v_mul_f32_e32 v27, v32, v115
	v_mul_f32_e32 v58, v59, v115
	v_fma_f32 v166, v56, v29, -v28
	v_fmac_f32_e32 v164, v153, v29
	v_mul_f32_e32 v29, v154, v117
	v_fma_f32 v59, v59, v114, -v27
	ds_read2_b32 v[27:28], v99 offset0:110 offset1:191
	v_fmac_f32_e32 v58, v32, v114
	v_mul_f32_e32 v56, v57, v117
	v_fma_f32 v124, v57, v116, -v29
	s_waitcnt vmcnt(7) lgkmcnt(2)
	v_mul_f32_e32 v31, v155, v120
	ds_read2_b32 v[29:30], v100 offset0:152 offset1:233
	v_mul_f32_e32 v39, v54, v120
	s_waitcnt lgkmcnt(2)
	v_mul_f32_e32 v33, v157, v122
	v_fmac_f32_e32 v56, v154, v116
	v_fma_f32 v54, v54, v119, -v31
	v_mul_f32_e32 v32, v52, v122
	ds_read2_b32 v[153:154], v104 offset0:58 offset1:139
	v_fma_f32 v57, v52, v121, -v33
	v_fmac_f32_e32 v39, v155, v119
	v_fmac_f32_e32 v32, v157, v121
	s_waitcnt vmcnt(6)
	v_mul_f32_e32 v35, v50, v130
	s_waitcnt lgkmcnt(1)
	v_mul_f32_e32 v37, v29, v132
	v_fmac_f32_e32 v35, v27, v129
	s_waitcnt vmcnt(5)
	v_mul_f32_e32 v31, v156, v126
	v_mul_f32_e32 v114, v55, v126
	;; [unrolled: 1-line block ×4, first 2 shown]
	v_fma_f32 v115, v55, v125, -v31
	v_fmac_f32_e32 v114, v156, v125
	ds_read2_b32 v[125:126], v103 offset0:16 offset1:97
	v_fma_f32 v122, v53, v127, -v33
	v_mul_f32_e32 v33, v27, v130
	v_fmac_f32_e32 v52, v158, v127
	s_waitcnt vmcnt(4)
	v_mul_f32_e32 v27, v28, v134
	v_mul_f32_e32 v53, v51, v134
	ds_read2_b32 v[127:128], v106 offset0:50 offset1:131
	v_mul_f32_e32 v31, v48, v132
	v_fma_f32 v50, v50, v129, -v33
	v_fma_f32 v116, v51, v133, -v27
	v_fmac_f32_e32 v53, v28, v133
	ds_read2_b32 v[27:28], v107 offset0:92 offset1:173
	v_mul_f32_e32 v33, v30, v136
	v_fmac_f32_e32 v31, v29, v131
	v_mul_f32_e32 v55, v49, v136
	s_waitcnt vmcnt(3)
	v_mul_f32_e32 v51, v45, v144
	v_mul_f32_e32 v120, v47, v142
	v_fma_f32 v119, v49, v135, -v33
	v_fma_f32 v48, v48, v131, -v37
	v_fmac_f32_e32 v55, v30, v135
	s_waitcnt vmcnt(1) lgkmcnt(2)
	v_mul_f32_e32 v29, v125, v138
	v_mul_f32_e32 v33, v153, v140
	;; [unrolled: 1-line block ×5, first 2 shown]
	v_fma_f32 v46, v46, v137, -v29
	v_fma_f32 v117, v44, v139, -v33
	v_mul_f32_e32 v29, v126, v142
	s_waitcnt lgkmcnt(1)
	v_mul_f32_e32 v33, v127, v146
	v_fma_f32 v123, v45, v143, -v30
	v_mul_f32_e32 v45, v42, v146
	v_fmac_f32_e32 v49, v125, v137
	v_fma_f32 v121, v47, v141, -v29
	v_fma_f32 v33, v42, v145, -v33
	s_waitcnt lgkmcnt(0)
	v_mul_f32_e32 v29, v27, v148
	v_mul_f32_e32 v42, v40, v148
	s_waitcnt vmcnt(0)
	v_mul_f32_e32 v30, v128, v150
	v_add_f32_e32 v125, v165, v166
	v_fmac_f32_e32 v120, v126, v141
	v_fma_f32 v47, v40, v147, -v29
	v_fmac_f32_e32 v42, v27, v147
	v_mov_b32_e32 v29, 0x78
	v_mov_b32_e32 v27, 2
	v_fma_f32 v40, v43, v149, -v30
	v_mul_f32_e32 v30, v28, v152
	v_mul_f32_e32 v44, v43, v150
	v_mul_u32_u24_sdwa v4, v4, v29 dst_sel:DWORD dst_unused:UNUSED_PAD src0_sel:WORD_0 src1_sel:DWORD
	v_lshlrev_b32_sdwa v6, v27, v6 dst_sel:DWORD dst_unused:UNUSED_PAD src0_sel:DWORD src1_sel:BYTE_0
	v_mul_f32_e32 v43, v41, v152
	v_add_f32_e32 v126, v118, v165
	v_fma_f32 v41, v41, v151, -v30
	v_fmac_f32_e32 v118, -0.5, v125
	v_add3_u32 v125, 0, v4, v6
	v_sub_f32_e32 v6, v163, v164
	v_add_f32_e32 v30, v59, v124
	v_fmac_f32_e32 v43, v28, v151
	v_add_f32_e32 v4, v126, v166
	v_mul_u32_u24_sdwa v3, v3, v29 dst_sel:DWORD dst_unused:UNUSED_PAD src0_sel:WORD_0 src1_sel:DWORD
	v_fmamk_f32 v28, v6, 0x3f5db3d7, v118
	v_fmac_f32_e32 v118, 0xbf5db3d7, v6
	v_add_f32_e32 v6, v113, v59
	v_lshlrev_b32_sdwa v11, v27, v11 dst_sel:DWORD dst_unused:UNUSED_PAD src0_sel:DWORD src1_sel:BYTE_0
	v_fmac_f32_e32 v113, -0.5, v30
	v_sub_f32_e32 v30, v58, v56
	v_fmac_f32_e32 v45, v127, v145
	v_fmac_f32_e32 v44, v128, v149
	ds_read_b32 v126, v109
	ds_read_b32 v127, v108
	;; [unrolled: 1-line block ×10, first 2 shown]
	s_waitcnt lgkmcnt(0)
	s_barrier
	buffer_gl0_inv
	ds_write2_b32 v125, v4, v28 offset1:10
	ds_write_b32 v125, v118 offset:80
	v_add3_u32 v118, 0, v3, v11
	v_add_f32_e32 v3, v6, v124
	v_fmamk_f32 v4, v30, 0x3f5db3d7, v113
	v_add_f32_e32 v6, v54, v57
	v_mul_u32_u24_sdwa v7, v7, v29 dst_sel:DWORD dst_unused:UNUSED_PAD src0_sel:WORD_0 src1_sel:DWORD
	v_lshlrev_b32_sdwa v8, v27, v8 dst_sel:DWORD dst_unused:UNUSED_PAD src0_sel:DWORD src1_sel:BYTE_0
	v_fmac_f32_e32 v113, 0xbf5db3d7, v30
	v_add_f32_e32 v11, v111, v54
	v_fmac_f32_e32 v111, -0.5, v6
	v_sub_f32_e32 v6, v39, v32
	ds_write2_b32 v118, v3, v4 offset1:10
	ds_write_b32 v118, v113 offset:80
	v_add3_u32 v113, 0, v7, v8
	v_add_f32_e32 v7, v115, v122
	v_lshlrev_b32_sdwa v8, v27, v13 dst_sel:DWORD dst_unused:UNUSED_PAD src0_sel:DWORD src1_sel:WORD_0
	v_add_f32_e32 v3, v11, v57
	v_fmamk_f32 v4, v6, 0x3f5db3d7, v111
	v_fmac_f32_e32 v111, 0xbf5db3d7, v6
	v_add_f32_e32 v6, v112, v115
	v_fmac_f32_e32 v112, -0.5, v7
	v_sub_f32_e32 v7, v114, v52
	v_add3_u32 v136, 0, v5, v8
	v_add_f32_e32 v5, v50, v48
	ds_write2_b32 v113, v3, v4 offset1:10
	ds_write_b32 v113, v111 offset:80
	v_add_f32_e32 v3, v6, v122
	v_fmamk_f32 v4, v7, 0x3f5db3d7, v112
	v_add_f32_e32 v6, v110, v50
	v_fmac_f32_e32 v110, -0.5, v5
	v_sub_f32_e32 v5, v35, v31
	v_fmac_f32_e32 v112, 0xbf5db3d7, v7
	v_mul_u32_u24_e32 v7, 0x78, v9
	v_lshlrev_b32_sdwa v8, v27, v15 dst_sel:DWORD dst_unused:UNUSED_PAD src0_sel:DWORD src1_sel:WORD_0
	ds_write2_b32 v136, v3, v4 offset1:10
	ds_write_b32 v136, v112 offset:80
	v_fmamk_f32 v4, v5, 0x3f5db3d7, v110
	v_fmac_f32_e32 v110, 0xbf5db3d7, v5
	v_add_f32_e32 v5, v116, v119
	v_add3_u32 v137, 0, v7, v8
	v_add_f32_e32 v3, v6, v48
	v_mul_u32_u24_e32 v6, 0x78, v12
	v_lshlrev_b32_sdwa v7, v27, v22 dst_sel:DWORD dst_unused:UNUSED_PAD src0_sel:DWORD src1_sel:WORD_0
	v_add_f32_e32 v8, v24, v116
	v_fmac_f32_e32 v24, -0.5, v5
	v_add_f32_e32 v5, v46, v117
	v_fmac_f32_e32 v37, v153, v139
	ds_write_b32 v137, v110 offset:80
	v_add3_u32 v110, 0, v6, v7
	v_mul_u32_u24_e32 v6, 0x78, v14
	v_lshlrev_b32_sdwa v7, v27, v25 dst_sel:DWORD dst_unused:UNUSED_PAD src0_sel:DWORD src1_sel:WORD_0
	v_fmac_f32_e32 v51, v154, v143
	ds_write2_b32 v137, v3, v4 offset1:10
	v_add_f32_e32 v3, v8, v119
	v_sub_f32_e32 v4, v53, v55
	v_add_f32_e32 v8, v20, v46
	v_fmac_f32_e32 v20, -0.5, v5
	v_add_f32_e32 v5, v121, v123
	v_add3_u32 v138, 0, v6, v7
	v_sub_f32_e32 v6, v49, v37
	v_fmamk_f32 v9, v4, 0x3f5db3d7, v24
	v_fmac_f32_e32 v24, 0xbf5db3d7, v4
	v_add_f32_e32 v4, v8, v117
	v_add_f32_e32 v7, v18, v121
	v_mul_u32_u24_e32 v8, 0x78, v21
	v_lshlrev_b32_sdwa v11, v27, v160 dst_sel:DWORD dst_unused:UNUSED_PAD src0_sel:DWORD src1_sel:WORD_0
	v_fmac_f32_e32 v18, -0.5, v5
	v_sub_f32_e32 v5, v120, v51
	v_fmamk_f32 v12, v6, 0x3f5db3d7, v20
	v_fmac_f32_e32 v20, 0xbf5db3d7, v6
	v_add3_u32 v139, 0, v8, v11
	v_add_f32_e32 v6, v7, v123
	v_fmamk_f32 v7, v5, 0x3f5db3d7, v18
	ds_write2_b32 v110, v3, v9 offset1:10
	ds_write_b32 v110, v24 offset:80
	ds_write2_b32 v138, v4, v12 offset1:10
	ds_write_b32 v138, v20 offset:80
	ds_write2_b32 v139, v6, v7 offset1:10
	v_add_f32_e32 v3, v33, v47
	v_add_f32_e32 v144, v58, v56
	v_fmac_f32_e32 v18, 0xbf5db3d7, v5
	v_mul_u32_u24_e32 v4, 0x78, v159
	v_lshlrev_b32_sdwa v5, v27, v161 dst_sel:DWORD dst_unused:UNUSED_PAD src0_sel:DWORD src1_sel:WORD_0
	v_add_f32_e32 v6, v10, v33
	v_fmac_f32_e32 v10, -0.5, v3
	v_sub_f32_e32 v3, v45, v42
	v_add_f32_e32 v7, v2, v40
	v_add_f32_e32 v58, v126, v58
	v_fmac_f32_e32 v126, -0.5, v144
	v_sub_f32_e32 v59, v59, v124
	v_add3_u32 v140, 0, v4, v5
	v_add_f32_e32 v4, v6, v47
	v_add_f32_e32 v5, v40, v41
	v_fmamk_f32 v6, v3, 0x3f5db3d7, v10
	v_fmac_f32_e32 v10, 0xbf5db3d7, v3
	v_add_f32_e32 v3, v7, v41
	v_add_f32_e32 v7, v163, v164
	;; [unrolled: 1-line block ×3, first 2 shown]
	v_fmamk_f32 v58, v59, 0xbf5db3d7, v126
	v_fmac_f32_e32 v126, 0x3f5db3d7, v59
	v_add_f32_e32 v59, v39, v32
	ds_write_b32 v139, v18 offset:80
	v_mul_u32_u24_e32 v8, 0x78, v23
	v_lshlrev_b32_sdwa v9, v27, v162 dst_sel:DWORD dst_unused:UNUSED_PAD src0_sel:DWORD src1_sel:WORD_0
	v_fmac_f32_e32 v2, -0.5, v5
	v_sub_f32_e32 v5, v44, v43
	ds_write2_b32 v140, v4, v6 offset1:10
	v_add_f32_e32 v6, v128, v163
	v_fmac_f32_e32 v128, -0.5, v7
	v_sub_f32_e32 v143, v165, v166
	v_add_f32_e32 v39, v127, v39
	v_fmac_f32_e32 v127, -0.5, v59
	v_sub_f32_e32 v54, v54, v57
	v_add3_u32 v141, 0, v8, v9
	v_fmamk_f32 v4, v5, 0x3f5db3d7, v2
	v_fmac_f32_e32 v2, 0xbf5db3d7, v5
	v_add_f32_e32 v142, v6, v164
	v_fmamk_f32 v124, v143, 0xbf5db3d7, v128
	v_add_f32_e32 v32, v39, v32
	v_fmamk_f32 v39, v54, 0xbf5db3d7, v127
	v_fmac_f32_e32 v128, 0x3f5db3d7, v143
	v_fmac_f32_e32 v127, 0x3f5db3d7, v54
	ds_write_b32 v140, v10 offset:80
	ds_write2_b32 v141, v3, v4 offset1:10
	ds_write_b32 v141, v2 offset:80
	s_waitcnt lgkmcnt(0)
	s_barrier
	buffer_gl0_inv
	ds_read_b32 v29, v109
	ds_read_b32 v28, v108
	;; [unrolled: 1-line block ×10, first 2 shown]
	ds_read2_b32 v[111:112], v61 offset0:42 offset1:123
	ds_read2_b32 v[151:152], v62 offset0:84 offset1:165
	;; [unrolled: 1-line block ×10, first 2 shown]
	s_waitcnt lgkmcnt(0)
	s_barrier
	buffer_gl0_inv
	ds_write2_b32 v125, v142, v124 offset1:10
	ds_write_b32 v125, v128 offset:80
	ds_write2_b32 v118, v56, v58 offset1:10
	ds_write_b32 v118, v126 offset:80
	;; [unrolled: 2-line block ×3, first 2 shown]
	v_add_f32_e32 v32, v35, v31
	v_add_f32_e32 v39, v53, v55
	;; [unrolled: 1-line block ×5, first 2 shown]
	v_fmac_f32_e32 v130, -0.5, v32
	v_sub_f32_e32 v32, v50, v48
	v_add_f32_e32 v48, v131, v53
	v_fmac_f32_e32 v131, -0.5, v39
	v_sub_f32_e32 v39, v116, v119
	v_add_f32_e32 v35, v35, v31
	v_add_f32_e32 v31, v49, v37
	v_fmamk_f32 v50, v32, 0xbf5db3d7, v130
	v_fmac_f32_e32 v130, 0x3f5db3d7, v32
	v_add_f32_e32 v32, v48, v55
	v_fmamk_f32 v48, v39, 0xbf5db3d7, v131
	v_fmac_f32_e32 v131, 0x3f5db3d7, v39
	v_add_f32_e32 v39, v120, v51
	v_add_f32_e32 v49, v132, v49
	v_fmac_f32_e32 v132, -0.5, v31
	v_sub_f32_e32 v31, v46, v117
	v_add_f32_e32 v46, v133, v120
	v_fmac_f32_e32 v133, -0.5, v39
	v_sub_f32_e32 v39, v121, v123
	v_add_f32_e32 v37, v49, v37
	v_fmamk_f32 v49, v31, 0xbf5db3d7, v132
	v_fmac_f32_e32 v132, 0x3f5db3d7, v31
	v_add_f32_e32 v31, v45, v42
	v_add_f32_e32 v46, v46, v51
	v_fmamk_f32 v51, v39, 0xbf5db3d7, v133
	v_add_f32_e32 v45, v134, v45
	v_fmac_f32_e32 v133, 0x3f5db3d7, v39
	v_add_f32_e32 v39, v44, v43
	v_fmac_f32_e32 v134, -0.5, v31
	v_sub_f32_e32 v31, v33, v47
	v_add_f32_e32 v33, v135, v44
	v_fmac_f32_e32 v129, -0.5, v56
	v_fmac_f32_e32 v135, -0.5, v39
	v_sub_f32_e32 v39, v40, v41
	v_fmamk_f32 v40, v31, 0xbf5db3d7, v134
	v_fmac_f32_e32 v134, 0x3f5db3d7, v31
	v_lshrrev_b16 v31, 12, v17
	v_sub_f32_e32 v56, v115, v122
	v_add_f32_e32 v41, v33, v43
	v_add_f32_e32 v52, v57, v52
	v_mov_b32_e32 v44, 0x8889
	v_mul_lo_u16 v17, v31, 30
	v_fmamk_f32 v54, v56, 0xbf5db3d7, v129
	v_fmac_f32_e32 v129, 0x3f5db3d7, v56
	ds_write2_b32 v136, v52, v54 offset1:10
	ds_write_b32 v136, v129 offset:80
	v_sub_nc_u16 v33, v80, v17
	v_lshrrev_b16 v17, 12, v19
	ds_write2_b32 v137, v35, v50 offset1:10
	ds_write_b32 v137, v130 offset:80
	ds_write2_b32 v110, v32, v48 offset1:10
	ds_write_b32 v110, v131 offset:80
	v_add_f32_e32 v42, v45, v42
	v_mul_lo_u16 v32, 0x89, v16
	ds_write2_b32 v138, v37, v49 offset1:10
	v_mul_lo_u16 v19, v17, 30
	v_lshlrev_b32_sdwa v37, v26, v33 dst_sel:DWORD dst_unused:UNUSED_PAD src0_sel:DWORD src1_sel:BYTE_0
	v_fmamk_f32 v43, v39, 0xbf5db3d7, v135
	v_lshrrev_b16 v32, 12, v32
	v_fmac_f32_e32 v135, 0x3f5db3d7, v39
	v_sub_nc_u16 v35, v86, v19
	v_mul_u32_u24_sdwa v19, v87, v44 dst_sel:DWORD dst_unused:UNUSED_PAD src0_sel:WORD_0 src1_sel:DWORD
	ds_write_b32 v138, v132 offset:80
	ds_write2_b32 v139, v46, v51 offset1:10
	ds_write_b32 v139, v133 offset:80
	ds_write2_b32 v140, v42, v40 offset1:10
	;; [unrolled: 2-line block ×3, first 2 shown]
	ds_write_b32 v141, v135 offset:80
	s_waitcnt lgkmcnt(0)
	s_barrier
	v_lshrrev_b32_e32 v19, 20, v19
	buffer_gl0_inv
	global_load_dwordx4 v[40:43], v37, s[8:9] offset:160
	v_mul_lo_u16 v39, v32, 30
	v_mul_lo_u16 v16, 0xb7, v16
	;; [unrolled: 1-line block ×3, first 2 shown]
	v_sub_nc_u16 v55, v87, v45
	v_mul_u32_u24_sdwa v45, v89, v44 dst_sel:DWORD dst_unused:UNUSED_PAD src0_sel:WORD_0 src1_sel:DWORD
	v_lshlrev_b32_sdwa v52, v26, v55 dst_sel:DWORD dst_unused:UNUSED_PAD src0_sel:DWORD src1_sel:WORD_0
	v_lshrrev_b32_e32 v47, 20, v45
	v_mul_u32_u24_sdwa v45, v90, v44 dst_sel:DWORD dst_unused:UNUSED_PAD src0_sel:WORD_0 src1_sel:DWORD
	global_load_dwordx4 v[115:118], v52, s[8:9] offset:160
	v_lshlrev_b32_sdwa v37, v26, v35 dst_sel:DWORD dst_unused:UNUSED_PAD src0_sel:DWORD src1_sel:BYTE_0
	v_lshrrev_b32_e32 v126, 20, v45
	v_mul_u32_u24_sdwa v45, v91, v44 dst_sel:DWORD dst_unused:UNUSED_PAD src0_sel:WORD_0 src1_sel:DWORD
	global_load_dwordx4 v[48:51], v37, s[8:9] offset:160
	v_sub_nc_u16 v37, v85, v39
	v_mul_u32_u24_sdwa v39, v88, v44 dst_sel:DWORD dst_unused:UNUSED_PAD src0_sel:WORD_0 src1_sel:DWORD
	v_lshrrev_b32_e32 v125, 20, v45
	v_mul_u32_u24_sdwa v45, v92, v44 dst_sel:DWORD dst_unused:UNUSED_PAD src0_sel:WORD_0 src1_sel:DWORD
	v_mul_u32_u24_sdwa v44, v93, v44 dst_sel:DWORD dst_unused:UNUSED_PAD src0_sel:WORD_0 src1_sel:DWORD
	v_lshlrev_b32_sdwa v46, v26, v37 dst_sel:DWORD dst_unused:UNUSED_PAD src0_sel:DWORD src1_sel:BYTE_0
	v_lshrrev_b32_e32 v39, 20, v39
	v_lshrrev_b32_e32 v161, 20, v45
	;; [unrolled: 1-line block ×3, first 2 shown]
	global_load_dwordx4 v[56:59], v46, s[8:9] offset:160
	v_mul_lo_u16 v46, v39, 30
	v_sub_nc_u16 v123, v88, v46
	v_mul_lo_u16 v46, v47, 30
	v_lshlrev_b32_sdwa v52, v26, v123 dst_sel:DWORD dst_unused:UNUSED_PAD src0_sel:DWORD src1_sel:WORD_0
	v_sub_nc_u16 v159, v89, v46
	v_mul_lo_u16 v46, v126, 30
	global_load_dwordx4 v[127:130], v52, s[8:9] offset:160
	v_sub_nc_u16 v160, v90, v46
	v_mul_lo_u16 v46, v125, 30
	v_lshlrev_b32_sdwa v45, v26, v160 dst_sel:DWORD dst_unused:UNUSED_PAD src0_sel:DWORD src1_sel:WORD_0
	v_sub_nc_u16 v162, v91, v46
	v_mul_lo_u16 v46, v161, 30
	global_load_dwordx4 v[135:138], v45, s[8:9] offset:160
	v_lshlrev_b32_sdwa v44, v26, v162 dst_sel:DWORD dst_unused:UNUSED_PAD src0_sel:DWORD src1_sel:WORD_0
	v_sub_nc_u16 v164, v92, v46
	global_load_dwordx4 v[139:142], v44, s[8:9] offset:160
	v_lshlrev_b32_sdwa v44, v26, v164 dst_sel:DWORD dst_unused:UNUSED_PAD src0_sel:DWORD src1_sel:WORD_0
	v_mul_lo_u16 v45, v163, 30
	global_load_dwordx4 v[143:146], v44, s[8:9] offset:160
	v_lshlrev_b32_sdwa v52, v26, v159 dst_sel:DWORD dst_unused:UNUSED_PAD src0_sel:DWORD src1_sel:WORD_0
	v_sub_nc_u16 v165, v93, v45
	global_load_dwordx4 v[131:134], v52, s[8:9] offset:160
	v_lshlrev_b32_sdwa v44, v26, v165 dst_sel:DWORD dst_unused:UNUSED_PAD src0_sel:DWORD src1_sel:WORD_0
	global_load_dwordx4 v[147:150], v44, s[8:9] offset:160
	ds_read2_b32 v[44:45], v61 offset0:42 offset1:123
	ds_read2_b32 v[52:53], v62 offset0:84 offset1:165
	;; [unrolled: 1-line block ×4, first 2 shown]
	s_waitcnt vmcnt(9) lgkmcnt(3)
	v_mul_f32_e32 v46, v44, v41
	v_mul_f32_e32 v166, v111, v41
	s_waitcnt lgkmcnt(2)
	v_mul_f32_e32 v41, v52, v43
	v_mul_f32_e32 v167, v151, v43
	v_fma_f32 v168, v111, v40, -v46
	v_fmac_f32_e32 v166, v44, v40
	v_fma_f32 v169, v151, v42, -v41
	v_fmac_f32_e32 v167, v52, v42
	ds_read2_b32 v[42:43], v99 offset0:110 offset1:191
	s_waitcnt vmcnt(7)
	v_mul_f32_e32 v41, v53, v51
	v_mul_f32_e32 v121, v152, v51
	;; [unrolled: 1-line block ×4, first 2 shown]
	v_fma_f32 v124, v152, v50, -v41
	ds_read2_b32 v[151:152], v100 offset0:152 offset1:233
	v_fma_f32 v119, v112, v48, -v40
	v_fmac_f32_e32 v111, v45, v48
	v_mul_f32_e32 v112, v15, v118
	v_fmac_f32_e32 v121, v53, v50
	s_waitcnt vmcnt(6) lgkmcnt(3)
	v_mul_f32_e32 v40, v155, v57
	v_mul_f32_e32 v45, v153, v57
	s_waitcnt lgkmcnt(2)
	v_mul_f32_e32 v44, v157, v59
	v_mul_f32_e32 v57, v154, v116
	;; [unrolled: 1-line block ×3, first 2 shown]
	v_fma_f32 v49, v153, v56, -v40
	v_fmac_f32_e32 v45, v155, v56
	v_mul_f32_e32 v40, v156, v116
	v_fma_f32 v113, v14, v58, -v44
	v_mul_f32_e32 v14, v158, v118
	v_fmac_f32_e32 v57, v156, v115
	ds_read2_b32 v[155:156], v104 offset0:58 offset1:139
	v_fma_f32 v114, v154, v115, -v40
	ds_read2_b32 v[153:154], v103 offset0:16 offset1:97
	v_fma_f32 v122, v15, v117, -v14
	v_fmac_f32_e32 v41, v157, v58
	s_waitcnt vmcnt(5) lgkmcnt(3)
	v_mul_f32_e32 v44, v42, v128
	v_mul_f32_e32 v40, v12, v128
	s_waitcnt lgkmcnt(2)
	v_mul_f32_e32 v14, v151, v130
	v_fmac_f32_e32 v112, v158, v117
	v_fma_f32 v46, v12, v127, -v44
	v_fmac_f32_e32 v40, v42, v127
	v_mul_f32_e32 v42, v10, v130
	v_fma_f32 v51, v10, v129, -v14
	ds_read2_b32 v[14:15], v106 offset0:50 offset1:131
	s_waitcnt vmcnt(4)
	v_mul_f32_e32 v50, v8, v136
	v_fmac_f32_e32 v42, v151, v129
	s_waitcnt lgkmcnt(1)
	v_fmac_f32_e32 v50, v153, v135
	s_waitcnt vmcnt(3)
	v_mul_f32_e32 v54, v7, v142
	v_mul_f32_e32 v116, v9, v140
	v_fmac_f32_e32 v54, v156, v141
	s_waitcnt vmcnt(2)
	v_mul_f32_e32 v48, v4, v144
	v_fmac_f32_e32 v116, v154, v139
	s_waitcnt lgkmcnt(0)
	v_fmac_f32_e32 v48, v14, v143
	s_waitcnt vmcnt(1)
	v_mul_f32_e32 v10, v43, v132
	v_mul_f32_e32 v12, v152, v134
	;; [unrolled: 1-line block ×4, first 2 shown]
	v_fma_f32 v58, v13, v131, -v10
	v_fma_f32 v115, v11, v133, -v12
	ds_read2_b32 v[10:11], v107 offset0:92 offset1:173
	v_mul_f32_e32 v13, v155, v138
	v_fmac_f32_e32 v52, v43, v131
	v_mul_f32_e32 v12, v153, v136
	v_mul_f32_e32 v43, v6, v138
	s_waitcnt vmcnt(0)
	v_mul_f32_e32 v110, v5, v148
	v_fma_f32 v59, v6, v137, -v13
	v_mul_f32_e32 v6, v154, v140
	v_fma_f32 v53, v8, v135, -v12
	v_mul_f32_e32 v8, v156, v142
	v_mul_f32_e32 v130, v3, v150
	v_fmac_f32_e32 v56, v152, v133
	v_fma_f32 v118, v9, v139, -v6
	v_mul_f32_e32 v6, v14, v144
	v_fma_f32 v120, v7, v141, -v8
	v_mul_f32_e32 v7, v15, v148
	v_lshlrev_b32_sdwa v9, v27, v33 dst_sel:DWORD dst_unused:UNUSED_PAD src0_sel:DWORD src1_sel:BYTE_0
	v_fmac_f32_e32 v43, v155, v137
	v_fma_f32 v44, v4, v143, -v6
	v_mul_f32_e32 v4, v2, v146
	s_waitcnt lgkmcnt(0)
	v_mul_f32_e32 v6, v10, v146
	v_fmac_f32_e32 v130, v11, v149
	ds_read_b32 v33, v109
	ds_read_b32 v131, v108
	;; [unrolled: 1-line block ×10, first 2 shown]
	v_fmac_f32_e32 v4, v10, v145
	v_fma_f32 v117, v2, v145, -v6
	v_fma_f32 v2, v5, v147, -v7
	v_mov_b32_e32 v5, 0x168
	v_add_f32_e32 v7, v168, v169
	v_mul_f32_e32 v6, v11, v150
	v_add_f32_e32 v10, v30, v168
	s_waitcnt lgkmcnt(0)
	v_mul_u32_u24_sdwa v8, v31, v5 dst_sel:DWORD dst_unused:UNUSED_PAD src0_sel:WORD_0 src1_sel:DWORD
	v_fmac_f32_e32 v30, -0.5, v7
	v_sub_f32_e32 v7, v166, v167
	v_fma_f32 v3, v3, v149, -v6
	v_add_f32_e32 v6, v10, v169
	v_add3_u32 v31, 0, v8, v9
	v_add_f32_e32 v9, v119, v124
	v_fmamk_f32 v8, v7, 0x3f5db3d7, v30
	v_fmac_f32_e32 v30, 0xbf5db3d7, v7
	s_barrier
	buffer_gl0_inv
	v_add_f32_e32 v7, v29, v119
	v_mul_u32_u24_sdwa v10, v17, v5 dst_sel:DWORD dst_unused:UNUSED_PAD src0_sel:WORD_0 src1_sel:DWORD
	v_lshlrev_b32_sdwa v11, v27, v35 dst_sel:DWORD dst_unused:UNUSED_PAD src0_sel:DWORD src1_sel:BYTE_0
	v_fmac_f32_e32 v29, -0.5, v9
	v_sub_f32_e32 v9, v111, v121
	ds_write2_b32 v31, v6, v8 offset1:30
	ds_write_b32 v31, v30 offset:240
	v_add_f32_e32 v8, v49, v113
	v_add3_u32 v30, 0, v10, v11
	v_add_f32_e32 v6, v7, v124
	v_fmamk_f32 v7, v9, 0x3f5db3d7, v29
	v_fmac_f32_e32 v29, 0xbf5db3d7, v9
	v_add_f32_e32 v9, v28, v49
	v_mul_u32_u24_sdwa v5, v32, v5 dst_sel:DWORD dst_unused:UNUSED_PAD src0_sel:WORD_0 src1_sel:DWORD
	v_lshlrev_b32_sdwa v10, v27, v37 dst_sel:DWORD dst_unused:UNUSED_PAD src0_sel:DWORD src1_sel:BYTE_0
	v_fmac_f32_e32 v28, -0.5, v8
	v_sub_f32_e32 v8, v45, v41
	ds_write2_b32 v30, v6, v7 offset1:30
	ds_write_b32 v30, v29 offset:240
	v_add_f32_e32 v6, v9, v113
	v_add3_u32 v5, 0, v5, v10
	v_add_f32_e32 v9, v114, v122
	v_fmamk_f32 v7, v8, 0x3f5db3d7, v28
	v_fmac_f32_e32 v28, 0xbf5db3d7, v8
	v_add_f32_e32 v8, v25, v114
	v_mul_u32_u24_e32 v10, 0x168, v19
	v_lshlrev_b32_sdwa v11, v27, v55 dst_sel:DWORD dst_unused:UNUSED_PAD src0_sel:DWORD src1_sel:WORD_0
	v_fmac_f32_e32 v25, -0.5, v9
	v_sub_f32_e32 v9, v57, v112
	ds_write2_b32 v5, v6, v7 offset1:30
	ds_write_b32 v5, v28 offset:240
	v_add_f32_e32 v6, v8, v122
	v_add_f32_e32 v8, v46, v51
	v_add3_u32 v29, 0, v10, v11
	v_fmamk_f32 v7, v9, 0x3f5db3d7, v25
	v_fmac_f32_e32 v25, 0xbf5db3d7, v9
	v_add_f32_e32 v9, v24, v46
	v_fmac_f32_e32 v24, -0.5, v8
	v_sub_f32_e32 v8, v40, v42
	v_mul_u32_u24_e32 v10, 0x168, v39
	v_lshlrev_b32_sdwa v11, v27, v123 dst_sel:DWORD dst_unused:UNUSED_PAD src0_sel:DWORD src1_sel:WORD_0
	ds_write2_b32 v29, v6, v7 offset1:30
	ds_write_b32 v29, v25 offset:240
	v_add_f32_e32 v6, v9, v51
	v_fmamk_f32 v7, v8, 0x3f5db3d7, v24
	v_fmac_f32_e32 v24, 0xbf5db3d7, v8
	v_add_f32_e32 v8, v58, v115
	v_add3_u32 v32, 0, v10, v11
	v_mul_u32_u24_e32 v9, 0x168, v47
	v_lshlrev_b32_sdwa v10, v27, v159 dst_sel:DWORD dst_unused:UNUSED_PAD src0_sel:DWORD src1_sel:WORD_0
	v_add_f32_e32 v11, v23, v58
	v_fmac_f32_e32 v23, -0.5, v8
	v_add_f32_e32 v8, v53, v59
	ds_write2_b32 v32, v6, v7 offset1:30
	v_add3_u32 v35, 0, v9, v10
	v_mul_u32_u24_e32 v9, 0x168, v126
	v_lshlrev_b32_sdwa v10, v27, v160 dst_sel:DWORD dst_unused:UNUSED_PAD src0_sel:DWORD src1_sel:WORD_0
	v_add_f32_e32 v6, v11, v115
	v_sub_f32_e32 v7, v52, v56
	v_add_f32_e32 v11, v22, v53
	v_fmac_f32_e32 v22, -0.5, v8
	v_add_f32_e32 v8, v118, v120
	v_add3_u32 v37, 0, v9, v10
	v_sub_f32_e32 v9, v50, v43
	v_fmamk_f32 v12, v7, 0x3f5db3d7, v23
	v_fmac_f32_e32 v23, 0xbf5db3d7, v7
	v_add_f32_e32 v7, v11, v59
	v_add_f32_e32 v10, v21, v118
	v_mul_u32_u24_e32 v11, 0x168, v125
	v_lshlrev_b32_sdwa v13, v27, v162 dst_sel:DWORD dst_unused:UNUSED_PAD src0_sel:DWORD src1_sel:WORD_0
	v_fmac_f32_e32 v21, -0.5, v8
	v_sub_f32_e32 v8, v116, v54
	v_fmamk_f32 v14, v9, 0x3f5db3d7, v22
	v_fmac_f32_e32 v22, 0xbf5db3d7, v9
	v_add3_u32 v39, 0, v11, v13
	v_add_f32_e32 v9, v10, v120
	v_fmamk_f32 v10, v8, 0x3f5db3d7, v21
	ds_write_b32 v32, v24 offset:240
	ds_write2_b32 v35, v6, v12 offset1:30
	ds_write_b32 v35, v23 offset:240
	ds_write2_b32 v37, v7, v14 offset1:30
	;; [unrolled: 2-line block ×3, first 2 shown]
	v_add_f32_e32 v6, v44, v117
	v_fmac_f32_e32 v21, 0xbf5db3d7, v8
	v_mul_u32_u24_e32 v7, 0x168, v161
	v_lshlrev_b32_sdwa v8, v27, v164 dst_sel:DWORD dst_unused:UNUSED_PAD src0_sel:DWORD src1_sel:WORD_0
	v_add_f32_e32 v9, v20, v44
	v_fmac_f32_e32 v20, -0.5, v6
	v_sub_f32_e32 v6, v48, v4
	v_add_f32_e32 v10, v18, v2
	v_fmac_f32_e32 v110, v15, v147
	v_add3_u32 v47, 0, v7, v8
	v_add_f32_e32 v7, v9, v117
	v_add_f32_e32 v8, v2, v3
	v_fmamk_f32 v9, v6, 0x3f5db3d7, v20
	v_fmac_f32_e32 v20, 0xbf5db3d7, v6
	v_add_f32_e32 v6, v10, v3
	v_add_f32_e32 v10, v166, v167
	;; [unrolled: 1-line block ×3, first 2 shown]
	ds_write_b32 v39, v21 offset:240
	v_mul_u32_u24_e32 v11, 0x168, v163
	v_lshlrev_b32_sdwa v12, v27, v165 dst_sel:DWORD dst_unused:UNUSED_PAD src0_sel:DWORD src1_sel:WORD_0
	v_fmac_f32_e32 v18, -0.5, v8
	v_sub_f32_e32 v8, v110, v130
	ds_write2_b32 v47, v7, v9 offset1:30
	v_add_f32_e32 v9, v132, v166
	v_fmac_f32_e32 v132, -0.5, v10
	v_sub_f32_e32 v125, v168, v169
	v_add_f32_e32 v111, v33, v111
	v_fmac_f32_e32 v33, -0.5, v140
	v_sub_f32_e32 v119, v119, v124
	v_add3_u32 v55, 0, v11, v12
	v_fmamk_f32 v7, v8, 0x3f5db3d7, v18
	v_fmac_f32_e32 v18, 0xbf5db3d7, v8
	v_add_f32_e32 v123, v9, v167
	v_fmamk_f32 v124, v125, 0xbf5db3d7, v132
	v_fmac_f32_e32 v132, 0x3f5db3d7, v125
	v_add_f32_e32 v111, v111, v121
	v_fmamk_f32 v121, v119, 0xbf5db3d7, v33
	ds_write_b32 v47, v20 offset:240
	ds_write2_b32 v55, v6, v7 offset1:30
	ds_write_b32 v55, v18 offset:240
	s_waitcnt lgkmcnt(0)
	s_barrier
	buffer_gl0_inv
	ds_read_b32 v25, v109
	ds_read_b32 v24, v108
	;; [unrolled: 1-line block ×10, first 2 shown]
	ds_read2_b32 v[126:127], v61 offset0:42 offset1:123
	ds_read2_b32 v[128:129], v62 offset0:84 offset1:165
	;; [unrolled: 1-line block ×10, first 2 shown]
	s_waitcnt lgkmcnt(0)
	s_barrier
	buffer_gl0_inv
	ds_write2_b32 v31, v123, v124 offset1:30
	ds_write_b32 v31, v132 offset:240
	v_add_f32_e32 v31, v45, v41
	ds_write2_b32 v30, v111, v121 offset1:30
	v_add_f32_e32 v111, v57, v112
	v_add_f32_e32 v45, v131, v45
	v_fmac_f32_e32 v33, 0x3f5db3d7, v119
	v_fmac_f32_e32 v131, -0.5, v31
	v_sub_f32_e32 v31, v49, v113
	v_add_f32_e32 v49, v133, v57
	v_fmac_f32_e32 v133, -0.5, v111
	v_sub_f32_e32 v57, v114, v122
	v_add_f32_e32 v41, v45, v41
	v_fmamk_f32 v45, v31, 0xbf5db3d7, v131
	v_fmac_f32_e32 v131, 0x3f5db3d7, v31
	v_add_f32_e32 v31, v49, v112
	v_fmamk_f32 v49, v57, 0xbf5db3d7, v133
	ds_write_b32 v30, v33 offset:240
	ds_write2_b32 v5, v41, v45 offset1:30
	ds_write_b32 v5, v131 offset:240
	v_add_f32_e32 v5, v40, v42
	v_add_f32_e32 v30, v52, v56
	v_add_f32_e32 v33, v135, v52
	ds_write2_b32 v29, v31, v49 offset1:30
	v_add_f32_e32 v31, v134, v40
	v_fmac_f32_e32 v134, -0.5, v5
	v_sub_f32_e32 v5, v46, v51
	v_fmac_f32_e32 v135, -0.5, v30
	v_sub_f32_e32 v30, v58, v115
	v_add_f32_e32 v31, v31, v42
	v_add_f32_e32 v42, v136, v50
	v_fmamk_f32 v40, v5, 0xbf5db3d7, v134
	v_fmac_f32_e32 v134, 0x3f5db3d7, v5
	v_add_f32_e32 v5, v33, v56
	v_add_f32_e32 v33, v50, v43
	v_fmamk_f32 v41, v30, 0xbf5db3d7, v135
	v_fmac_f32_e32 v135, 0x3f5db3d7, v30
	v_add_f32_e32 v30, v116, v54
	v_add_f32_e32 v45, v137, v116
	v_fmac_f32_e32 v136, -0.5, v33
	v_sub_f32_e32 v33, v53, v59
	v_fmac_f32_e32 v133, 0x3f5db3d7, v57
	v_fmac_f32_e32 v137, -0.5, v30
	v_sub_f32_e32 v30, v118, v120
	v_add_f32_e32 v42, v42, v43
	v_fmamk_f32 v43, v33, 0xbf5db3d7, v136
	v_fmac_f32_e32 v136, 0x3f5db3d7, v33
	v_add_f32_e32 v33, v45, v54
	v_add_f32_e32 v45, v48, v4
	v_fmamk_f32 v46, v30, 0xbf5db3d7, v137
	v_fmac_f32_e32 v137, 0x3f5db3d7, v30
	v_add_f32_e32 v30, v110, v130
	ds_write_b32 v29, v133 offset:240
	ds_write2_b32 v32, v31, v40 offset1:30
	ds_write_b32 v32, v134 offset:240
	ds_write2_b32 v35, v5, v41 offset1:30
	;; [unrolled: 2-line block ×4, first 2 shown]
	v_add_nc_u32_e32 v5, -9, v80
	v_add_f32_e32 v48, v138, v48
	v_fmac_f32_e32 v138, -0.5, v45
	v_sub_f32_e32 v44, v44, v117
	v_add_f32_e32 v45, v139, v110
	v_fmac_f32_e32 v139, -0.5, v30
	v_sub_f32_e32 v2, v2, v3
	v_mov_b32_e32 v3, 0
	v_cndmask_b32_e64 v29, v5, v86, s0
	v_add_f32_e32 v4, v48, v4
	v_fmamk_f32 v30, v44, 0xbf5db3d7, v138
	v_fmac_f32_e32 v138, 0x3f5db3d7, v44
	v_add_f32_e32 v44, v45, v130
	v_fmamk_f32 v45, v2, 0xbf5db3d7, v139
	v_fmac_f32_e32 v139, 0x3f5db3d7, v2
	v_lshlrev_b32_e32 v2, 1, v80
	ds_write_b32 v39, v137 offset:240
	ds_write2_b32 v47, v4, v30 offset1:30
	v_lshlrev_b32_e32 v30, 1, v29
	v_mov_b32_e32 v31, v3
	v_mov_b32_e32 v57, 0x2d83
	v_lshlrev_b64 v[4:5], 3, v[2:3]
	ds_write_b32 v47, v138 offset:240
	ds_write2_b32 v55, v44, v45 offset1:30
	ds_write_b32 v55, v139 offset:240
	v_lshlrev_b64 v[31:32], 3, v[30:31]
	v_mul_u32_u24_sdwa v35, v88, v57 dst_sel:DWORD dst_unused:UNUSED_PAD src0_sel:WORD_0 src1_sel:DWORD
	s_waitcnt lgkmcnt(0)
	v_add_co_u32 v4, s0, s8, v4
	v_add_co_ci_u32_e64 v5, s0, s9, v5, s0
	v_add_co_u32 v31, s0, s8, v31
	v_add_co_ci_u32_e64 v32, s0, s9, v32, s0
	v_lshrrev_b16 v30, 14, v16
	s_barrier
	buffer_gl0_inv
	v_mul_u32_u24_sdwa v16, v87, v57 dst_sel:DWORD dst_unused:UNUSED_PAD src0_sel:WORD_0 src1_sel:DWORD
	global_load_dwordx4 v[45:48], v[31:32], off offset:640
	v_lshrrev_b32_e32 v32, 20, v35
	v_mul_lo_u16 v33, 0x5a, v30
	global_load_dwordx4 v[41:44], v[4:5], off offset:640
	v_lshrrev_b32_e32 v16, 20, v16
	v_cmp_lt_u32_e64 s0, 8, v80
	v_mul_lo_u16 v39, 0x5a, v32
	v_sub_nc_u16 v33, v85, v33
	v_mul_lo_u16 v31, 0x5a, v16
	v_sub_nc_u16 v40, v88, v39
	v_lshlrev_b32_sdwa v35, v26, v33 dst_sel:DWORD dst_unused:UNUSED_PAD src0_sel:DWORD src1_sel:BYTE_0
	v_sub_nc_u16 v37, v87, v31
	v_mul_u32_u24_sdwa v31, v89, v57 dst_sel:DWORD dst_unused:UNUSED_PAD src0_sel:WORD_0 src1_sel:DWORD
	v_lshlrev_b32_sdwa v59, v26, v40 dst_sel:DWORD dst_unused:UNUSED_PAD src0_sel:DWORD src1_sel:WORD_0
	global_load_dwordx4 v[49:52], v35, s[8:9] offset:640
	v_lshlrev_b32_sdwa v53, v26, v37 dst_sel:DWORD dst_unused:UNUSED_PAD src0_sel:DWORD src1_sel:WORD_0
	global_load_dwordx4 v[111:114], v59, s[8:9] offset:640
	v_lshrrev_b32_e32 v35, 20, v31
	v_mul_u32_u24_sdwa v31, v90, v57 dst_sel:DWORD dst_unused:UNUSED_PAD src0_sel:WORD_0 src1_sel:DWORD
	global_load_dwordx4 v[53:56], v53, s[8:9] offset:640
	v_mul_lo_u16 v58, 0x5a, v35
	v_lshrrev_b32_e32 v39, 20, v31
	v_sub_nc_u16 v156, v89, v58
	v_mul_lo_u16 v31, 0x5a, v39
	v_mul_u32_u24_sdwa v58, v91, v57 dst_sel:DWORD dst_unused:UNUSED_PAD src0_sel:WORD_0 src1_sel:DWORD
	v_lshlrev_b32_sdwa v59, v26, v156 dst_sel:DWORD dst_unused:UNUSED_PAD src0_sel:DWORD src1_sel:WORD_0
	v_sub_nc_u16 v157, v90, v31
	v_lshrrev_b32_e32 v158, 20, v58
	v_mul_u32_u24_sdwa v58, v93, v57 dst_sel:DWORD dst_unused:UNUSED_PAD src0_sel:WORD_0 src1_sel:DWORD
	v_mul_u32_u24_sdwa v57, v92, v57 dst_sel:DWORD dst_unused:UNUSED_PAD src0_sel:WORD_0 src1_sel:DWORD
	global_load_dwordx4 v[130:133], v59, s[8:9] offset:640
	v_lshlrev_b32_sdwa v31, v26, v157 dst_sel:DWORD dst_unused:UNUSED_PAD src0_sel:DWORD src1_sel:WORD_0
	v_mul_lo_u16 v59, 0x5a, v158
	v_lshrrev_b32_e32 v159, 20, v57
	global_load_dwordx4 v[134:137], v31, s[8:9] offset:640
	v_lshrrev_b32_e32 v31, 20, v58
	v_sub_nc_u16 v160, v91, v59
	v_mul_lo_u16 v57, 0x5a, v159
	v_mul_lo_u16 v31, 0x5a, v31
	v_lshlrev_b32_sdwa v58, v26, v160 dst_sel:DWORD dst_unused:UNUSED_PAD src0_sel:DWORD src1_sel:WORD_0
	v_sub_nc_u16 v161, v92, v57
	v_sub_nc_u16 v31, v93, v31
	global_load_dwordx4 v[138:141], v58, s[8:9] offset:640
	v_and_b32_e32 v162, 0xffff, v31
	v_lshlrev_b32_sdwa v31, v26, v161 dst_sel:DWORD dst_unused:UNUSED_PAD src0_sel:DWORD src1_sel:WORD_0
	v_lshlrev_b32_e32 v57, 4, v162
	s_clause 0x1
	global_load_dwordx4 v[142:145], v31, s[8:9] offset:640
	global_load_dwordx4 v[146:149], v57, s[8:9] offset:640
	ds_read2_b32 v[57:58], v61 offset0:42 offset1:123
	ds_read2_b32 v[115:116], v62 offset0:84 offset1:165
	;; [unrolled: 1-line block ×4, first 2 shown]
	s_waitcnt vmcnt(9)
	v_mul_f32_e32 v124, v129, v48
	s_waitcnt vmcnt(8) lgkmcnt(3)
	v_mul_f32_e32 v31, v57, v42
	v_mul_f32_e32 v163, v126, v42
	s_waitcnt lgkmcnt(2)
	v_mul_f32_e32 v42, v115, v44
	v_mul_f32_e32 v164, v128, v44
	v_fmac_f32_e32 v124, v116, v47
	v_fma_f32 v165, v126, v41, -v31
	v_fmac_f32_e32 v163, v57, v41
	v_fma_f32 v166, v128, v43, -v42
	ds_read2_b32 v[41:42], v99 offset0:110 offset1:191
	v_mul_f32_e32 v31, v58, v46
	v_fmac_f32_e32 v164, v115, v43
	v_mul_f32_e32 v126, v127, v46
	v_mul_f32_e32 v43, v116, v48
	v_fma_f32 v127, v127, v45, -v31
	s_waitcnt vmcnt(7) lgkmcnt(2)
	v_mul_f32_e32 v31, v118, v50
	v_fmac_f32_e32 v126, v58, v45
	v_fma_f32 v129, v129, v47, -v43
	v_mul_f32_e32 v122, v150, v50
	ds_read2_b32 v[43:44], v100 offset0:152 offset1:233
	s_waitcnt lgkmcnt(2)
	v_mul_f32_e32 v45, v120, v52
	v_mul_f32_e32 v115, v152, v52
	v_fma_f32 v125, v150, v49, -v31
	s_waitcnt vmcnt(5)
	v_mul_f32_e32 v31, v119, v54
	v_fmac_f32_e32 v122, v118, v49
	v_fma_f32 v128, v152, v51, -v45
	v_fmac_f32_e32 v115, v120, v51
	v_mul_f32_e32 v118, v151, v54
	ds_read2_b32 v[47:48], v103 offset0:16 offset1:97
	s_waitcnt lgkmcnt(2)
	v_mul_f32_e32 v45, v41, v112
	ds_read2_b32 v[51:52], v104 offset0:58 offset1:139
	v_fma_f32 v117, v151, v53, -v31
	v_fmac_f32_e32 v118, v119, v53
	v_mul_f32_e32 v116, v154, v112
	v_fma_f32 v112, v154, v111, -v45
	v_mul_f32_e32 v31, v121, v56
	v_mul_f32_e32 v57, v153, v56
	v_fmac_f32_e32 v116, v41, v111
	s_waitcnt vmcnt(4)
	v_mul_f32_e32 v45, v42, v131
	v_mul_f32_e32 v53, v155, v131
	v_fma_f32 v123, v153, v55, -v31
	v_fmac_f32_e32 v57, v121, v55
	s_waitcnt lgkmcnt(2)
	v_mul_f32_e32 v31, v43, v114
	v_fma_f32 v58, v155, v130, -v45
	v_fmac_f32_e32 v53, v42, v130
	ds_read2_b32 v[41:42], v106 offset0:50 offset1:131
	ds_read2_b32 v[130:131], v107 offset0:92 offset1:173
	v_mul_f32_e32 v55, v14, v114
	v_fma_f32 v120, v14, v113, -v31
	s_waitcnt vmcnt(3) lgkmcnt(3)
	v_mul_f32_e32 v31, v47, v135
	v_mul_f32_e32 v46, v12, v135
	;; [unrolled: 1-line block ×3, first 2 shown]
	v_fmac_f32_e32 v55, v43, v113
	s_waitcnt lgkmcnt(2)
	v_mul_f32_e32 v43, v51, v137
	v_fma_f32 v49, v12, v134, -v31
	v_fmac_f32_e32 v46, v47, v134
	v_mul_f32_e32 v47, v10, v137
	s_waitcnt vmcnt(2)
	v_mul_f32_e32 v12, v52, v141
	v_fma_f32 v54, v10, v136, -v43
	v_mul_f32_e32 v10, v48, v139
	v_mul_f32_e32 v110, v13, v139
	;; [unrolled: 1-line block ×3, first 2 shown]
	v_fma_f32 v113, v11, v140, -v12
	v_fmac_f32_e32 v47, v51, v136
	v_fma_f32 v111, v13, v138, -v10
	v_fmac_f32_e32 v110, v48, v138
	v_fmac_f32_e32 v50, v52, v140
	v_mul_f32_e32 v59, v15, v133
	s_waitcnt vmcnt(1) lgkmcnt(1)
	v_mul_f32_e32 v10, v41, v143
	s_waitcnt lgkmcnt(0)
	v_mul_f32_e32 v11, v130, v145
	v_mul_f32_e32 v45, v8, v143
	;; [unrolled: 1-line block ×3, first 2 shown]
	s_waitcnt vmcnt(0)
	v_mul_f32_e32 v12, v42, v147
	v_fma_f32 v48, v8, v142, -v10
	v_fma_f32 v52, v6, v144, -v11
	v_mul_f32_e32 v6, v131, v149
	v_add_f32_e32 v8, v165, v166
	v_fma_f32 v51, v9, v146, -v12
	v_mul_f32_e32 v56, v9, v147
	v_add_f32_e32 v9, v28, v165
	v_fma_f32 v121, v7, v148, -v6
	v_fmac_f32_e32 v28, -0.5, v8
	v_sub_f32_e32 v6, v163, v164
	v_mul_f32_e32 v114, v7, v149
	v_add_f32_e32 v7, v9, v166
	v_fma_f32 v119, v15, v132, -v14
	v_fmac_f32_e32 v59, v44, v132
	v_fmamk_f32 v8, v6, 0x3f5db3d7, v28
	v_fmac_f32_e32 v31, v130, v144
	v_fmac_f32_e32 v114, v131, v148
	ds_read_b32 v130, v109
	ds_read_b32 v131, v108
	;; [unrolled: 1-line block ×10, first 2 shown]
	s_waitcnt lgkmcnt(0)
	s_barrier
	buffer_gl0_inv
	ds_write2_b32 v38, v7, v8 offset1:90
	v_fmac_f32_e32 v28, 0xbf5db3d7, v6
	v_lshlrev_b32_e32 v6, 2, v29
	v_cndmask_b32_e64 v8, 0, 0x438, s0
	v_add_f32_e32 v7, v127, v129
	v_add_f32_e32 v9, v25, v127
	ds_write_b32 v38, v28 offset:720
	v_add_f32_e32 v10, v125, v128
	v_add3_u32 v28, 0, v8, v6
	v_mov_b32_e32 v8, 0x438
	v_fmac_f32_e32 v25, -0.5, v7
	v_sub_f32_e32 v7, v126, v124
	v_lshlrev_b32_sdwa v11, v27, v33 dst_sel:DWORD dst_unused:UNUSED_PAD src0_sel:DWORD src1_sel:BYTE_0
	v_add_f32_e32 v6, v9, v129
	v_mul_u32_u24_sdwa v8, v30, v8 dst_sel:DWORD dst_unused:UNUSED_PAD src0_sel:WORD_0 src1_sel:DWORD
	v_fmac_f32_e32 v45, v41, v142
	v_fmamk_f32 v9, v7, 0x3f5db3d7, v25
	v_fmac_f32_e32 v25, 0xbf5db3d7, v7
	v_add_f32_e32 v7, v24, v125
	v_fmac_f32_e32 v24, -0.5, v10
	v_sub_f32_e32 v10, v122, v115
	v_add3_u32 v29, 0, v8, v11
	v_add_f32_e32 v8, v117, v123
	ds_write2_b32 v28, v6, v9 offset1:90
	ds_write_b32 v28, v25 offset:720
	v_add_f32_e32 v6, v7, v128
	v_fmamk_f32 v7, v10, 0x3f5db3d7, v24
	v_add_f32_e32 v9, v23, v117
	v_fmac_f32_e32 v24, 0xbf5db3d7, v10
	v_mul_u32_u24_e32 v10, 0x438, v16
	v_lshlrev_b32_sdwa v11, v27, v37 dst_sel:DWORD dst_unused:UNUSED_PAD src0_sel:DWORD src1_sel:WORD_0
	v_fmac_f32_e32 v23, -0.5, v8
	v_sub_f32_e32 v8, v118, v57
	ds_write2_b32 v29, v6, v7 offset1:90
	ds_write_b32 v29, v24 offset:720
	v_add_f32_e32 v6, v9, v123
	v_add_f32_e32 v9, v112, v120
	v_add3_u32 v30, 0, v10, v11
	v_fmamk_f32 v7, v8, 0x3f5db3d7, v23
	v_fmac_f32_e32 v23, 0xbf5db3d7, v8
	v_add_f32_e32 v8, v22, v112
	v_mul_u32_u24_e32 v10, 0x438, v32
	v_lshlrev_b32_sdwa v11, v27, v40 dst_sel:DWORD dst_unused:UNUSED_PAD src0_sel:DWORD src1_sel:WORD_0
	v_fmac_f32_e32 v22, -0.5, v9
	v_sub_f32_e32 v9, v116, v55
	ds_write2_b32 v30, v6, v7 offset1:90
	ds_write_b32 v30, v23 offset:720
	v_add_f32_e32 v6, v8, v120
	v_add_f32_e32 v8, v58, v119
	v_add3_u32 v140, 0, v10, v11
	v_fmamk_f32 v7, v9, 0x3f5db3d7, v22
	v_fmac_f32_e32 v22, 0xbf5db3d7, v9
	v_mul_u32_u24_e32 v9, 0x438, v35
	v_lshlrev_b32_sdwa v10, v27, v156 dst_sel:DWORD dst_unused:UNUSED_PAD src0_sel:DWORD src1_sel:WORD_0
	v_add_f32_e32 v11, v21, v58
	v_fmac_f32_e32 v21, -0.5, v8
	v_add_f32_e32 v8, v49, v54
	ds_write2_b32 v140, v6, v7 offset1:90
	v_add3_u32 v141, 0, v9, v10
	v_mul_u32_u24_e32 v9, 0x438, v39
	v_lshlrev_b32_sdwa v10, v27, v157 dst_sel:DWORD dst_unused:UNUSED_PAD src0_sel:DWORD src1_sel:WORD_0
	v_add_f32_e32 v6, v11, v119
	v_sub_f32_e32 v7, v53, v59
	v_add_f32_e32 v11, v20, v49
	v_fmac_f32_e32 v20, -0.5, v8
	v_add_f32_e32 v8, v111, v113
	v_add3_u32 v142, 0, v9, v10
	v_sub_f32_e32 v9, v46, v47
	v_fmamk_f32 v12, v7, 0x3f5db3d7, v21
	v_fmac_f32_e32 v21, 0xbf5db3d7, v7
	v_add_f32_e32 v7, v11, v54
	v_add_f32_e32 v10, v19, v111
	v_mul_u32_u24_e32 v11, 0x438, v158
	v_lshlrev_b32_sdwa v13, v27, v160 dst_sel:DWORD dst_unused:UNUSED_PAD src0_sel:DWORD src1_sel:WORD_0
	v_fmac_f32_e32 v19, -0.5, v8
	v_sub_f32_e32 v8, v110, v50
	v_fmamk_f32 v14, v9, 0x3f5db3d7, v20
	v_fmac_f32_e32 v20, 0xbf5db3d7, v9
	v_add3_u32 v143, 0, v11, v13
	v_add_f32_e32 v9, v10, v113
	v_fmamk_f32 v10, v8, 0x3f5db3d7, v19
	ds_write_b32 v140, v22 offset:720
	ds_write2_b32 v141, v6, v12 offset1:90
	ds_write_b32 v141, v21 offset:720
	ds_write2_b32 v142, v7, v14 offset1:90
	;; [unrolled: 2-line block ×3, first 2 shown]
	v_add_f32_e32 v6, v48, v52
	v_fmac_f32_e32 v19, 0xbf5db3d7, v8
	v_mul_u32_u24_e32 v8, 0x438, v159
	v_lshlrev_b32_sdwa v9, v27, v161 dst_sel:DWORD dst_unused:UNUSED_PAD src0_sel:DWORD src1_sel:WORD_0
	v_add_f32_e32 v7, v18, v48
	v_fmac_f32_e32 v18, -0.5, v6
	v_sub_f32_e32 v6, v45, v31
	v_fmac_f32_e32 v56, v42, v146
	v_add3_u32 v144, 0, v8, v9
	v_add_f32_e32 v9, v17, v51
	v_add_f32_e32 v10, v51, v121
	;; [unrolled: 1-line block ×3, first 2 shown]
	v_fmamk_f32 v8, v6, 0x3f5db3d7, v18
	v_fmac_f32_e32 v18, 0xbf5db3d7, v6
	v_add_f32_e32 v6, v9, v121
	v_add_f32_e32 v9, v163, v164
	;; [unrolled: 1-line block ×4, first 2 shown]
	ds_write_b32 v143, v19 offset:720
	v_fmac_f32_e32 v17, -0.5, v10
	v_sub_f32_e32 v10, v56, v114
	v_lshl_add_u32 v145, v162, 2, 0
	ds_write2_b32 v144, v7, v8 offset1:90
	v_add_f32_e32 v8, v132, v163
	v_fmac_f32_e32 v132, -0.5, v9
	v_sub_f32_e32 v148, v165, v166
	v_fmac_f32_e32 v130, -0.5, v149
	v_sub_f32_e32 v127, v127, v129
	v_add_f32_e32 v124, v126, v124
	v_add_f32_e32 v126, v122, v115
	v_fmamk_f32 v7, v10, 0x3f5db3d7, v17
	v_add_nc_u32_e32 v146, 0x2000, v145
	v_fmac_f32_e32 v17, 0xbf5db3d7, v10
	v_add_f32_e32 v147, v8, v164
	v_fmamk_f32 v150, v148, 0xbf5db3d7, v132
	v_fmac_f32_e32 v132, 0x3f5db3d7, v148
	v_fmamk_f32 v129, v127, 0xbf5db3d7, v130
	v_add_f32_e32 v122, v131, v122
	v_fmac_f32_e32 v131, -0.5, v126
	v_sub_f32_e32 v125, v125, v128
	v_fmac_f32_e32 v130, 0x3f5db3d7, v127
	ds_write_b32 v144, v18 offset:720
	ds_write2_b32 v146, v6, v7 offset0:112 offset1:202
	ds_write_b32 v145, v17 offset:9360
	s_waitcnt lgkmcnt(0)
	s_barrier
	buffer_gl0_inv
	ds_read_b32 v43, v109
	ds_read_b32 v42, v108
	;; [unrolled: 1-line block ×10, first 2 shown]
	ds_read2_b32 v[24:25], v61 offset0:42 offset1:123
	ds_read2_b32 v[22:23], v62 offset0:84 offset1:165
	;; [unrolled: 1-line block ×10, first 2 shown]
	s_waitcnt lgkmcnt(0)
	s_barrier
	buffer_gl0_inv
	ds_write2_b32 v38, v147, v150 offset1:90
	ds_write_b32 v38, v132 offset:720
	ds_write2_b32 v28, v124, v129 offset1:90
	ds_write_b32 v28, v130 offset:720
	v_add_f32_e32 v28, v118, v57
	v_add_f32_e32 v115, v122, v115
	v_fmamk_f32 v122, v125, 0xbf5db3d7, v131
	v_fmac_f32_e32 v131, 0x3f5db3d7, v125
	v_add_f32_e32 v118, v133, v118
	v_fmac_f32_e32 v133, -0.5, v28
	v_sub_f32_e32 v28, v117, v123
	ds_write2_b32 v29, v115, v122 offset1:90
	v_add_f32_e32 v115, v116, v55
	ds_write_b32 v29, v131 offset:720
	v_add_f32_e32 v29, v118, v57
	v_fmamk_f32 v57, v28, 0xbf5db3d7, v133
	v_add_f32_e32 v116, v134, v116
	v_fmac_f32_e32 v134, -0.5, v115
	v_sub_f32_e32 v112, v112, v120
	v_fmac_f32_e32 v133, 0x3f5db3d7, v28
	v_add_f32_e32 v28, v53, v59
	ds_write2_b32 v30, v29, v57 offset1:90
	v_add_f32_e32 v29, v116, v55
	v_fmamk_f32 v55, v112, 0xbf5db3d7, v134
	ds_write_b32 v30, v133 offset:720
	v_add_f32_e32 v30, v135, v53
	v_fmac_f32_e32 v135, -0.5, v28
	v_sub_f32_e32 v28, v58, v119
	ds_write2_b32 v140, v29, v55 offset1:90
	v_fmac_f32_e32 v134, 0x3f5db3d7, v112
	v_add_f32_e32 v29, v30, v59
	v_add_f32_e32 v30, v46, v47
	v_fmamk_f32 v53, v28, 0xbf5db3d7, v135
	v_fmac_f32_e32 v135, 0x3f5db3d7, v28
	v_add_f32_e32 v28, v110, v50
	v_add_f32_e32 v46, v136, v46
	v_fmac_f32_e32 v136, -0.5, v30
	v_sub_f32_e32 v30, v49, v54
	v_add_f32_e32 v49, v137, v110
	v_fmac_f32_e32 v137, -0.5, v28
	v_sub_f32_e32 v28, v111, v113
	v_add_f32_e32 v46, v46, v47
	v_fmamk_f32 v47, v30, 0xbf5db3d7, v136
	v_fmac_f32_e32 v136, 0x3f5db3d7, v30
	v_add_f32_e32 v30, v49, v50
	v_add_f32_e32 v49, v45, v31
	v_fmamk_f32 v50, v28, 0xbf5db3d7, v137
	v_fmac_f32_e32 v137, 0x3f5db3d7, v28
	v_add_f32_e32 v28, v56, v114
	v_add_f32_e32 v45, v138, v45
	v_fmac_f32_e32 v138, -0.5, v49
	v_sub_f32_e32 v48, v48, v52
	v_add_f32_e32 v49, v139, v56
	v_fmac_f32_e32 v139, -0.5, v28
	v_sub_f32_e32 v28, v51, v121
	v_add_f32_e32 v31, v45, v31
	v_fmamk_f32 v45, v48, 0xbf5db3d7, v138
	v_fmac_f32_e32 v138, 0x3f5db3d7, v48
	v_add_f32_e32 v48, v49, v114
	v_fmamk_f32 v49, v28, 0xbf5db3d7, v139
	v_fmac_f32_e32 v139, 0x3f5db3d7, v28
	ds_write_b32 v140, v134 offset:720
	ds_write2_b32 v141, v29, v53 offset1:90
	ds_write_b32 v141, v135 offset:720
	ds_write2_b32 v142, v46, v47 offset1:90
	;; [unrolled: 2-line block ×3, first 2 shown]
	v_lshlrev_b32_e32 v28, 1, v86
	v_mov_b32_e32 v29, v3
	v_add_co_u32 v46, s0, 0x800, v4
	v_add_co_ci_u32_e64 v47, s0, 0, v5, s0
	v_lshlrev_b64 v[28:29], 3, v[28:29]
	ds_write_b32 v143, v137 offset:720
	ds_write2_b32 v144, v31, v45 offset1:90
	ds_write_b32 v144, v138 offset:720
	ds_write2_b32 v146, v48, v49 offset0:112 offset1:202
	v_subrev_nc_u32_e32 v45, 27, v80
	v_lshlrev_b32_e32 v48, 1, v85
	v_mov_b32_e32 v49, v3
	v_add_nc_u32_e32 v110, 0x6c, v2
	v_add_co_u32 v30, s0, s8, v28
	v_add_co_ci_u32_e64 v31, s0, s9, v29, s0
	v_lshlrev_b64 v[28:29], 3, v[48:49]
	v_add_co_u32 v51, s0, 0x800, v30
	v_add_co_ci_u32_e64 v52, s0, 0, v31, s0
	v_cmp_gt_u32_e64 s0, 27, v80
	v_mov_b32_e32 v111, v3
	ds_write_b32 v145, v139 offset:9360
	s_waitcnt lgkmcnt(0)
	s_barrier
	v_cndmask_b32_e64 v45, v45, v87, s0
	v_add_co_u32 v28, s0, s8, v28
	v_add_co_ci_u32_e64 v29, s0, s9, v29, s0
	v_lshlrev_b32_e32 v48, 1, v45
	v_add_co_u32 v55, s0, 0x800, v28
	v_add_co_ci_u32_e64 v56, s0, 0, v29, s0
	v_lshlrev_b64 v[57:58], 3, v[48:49]
	buffer_gl0_inv
	s_clause 0x1
	global_load_dwordx4 v[47:50], v[46:47], off offset:32
	global_load_dwordx4 v[51:54], v[51:52], off offset:32
	v_mov_b32_e32 v122, 0x795d
	v_add_nc_u32_e32 v2, 0x10e, v2
	v_add_co_u32 v46, s0, s8, v57
	v_add_co_ci_u32_e64 v59, s0, s9, v58, s0
	v_lshlrev_b64 v[57:58], 3, v[110:111]
	v_add_co_u32 v110, s0, 0x800, v46
	v_mul_u32_u24_sdwa v46, v90, v122 dst_sel:DWORD dst_unused:UNUSED_PAD src0_sel:WORD_0 src1_sel:DWORD
	v_add_co_ci_u32_e64 v111, s0, 0, v59, s0
	v_add_co_u32 v59, s0, s8, v57
	v_add_co_ci_u32_e64 v112, s0, s9, v58, s0
	v_mul_u32_u24_sdwa v113, v91, v122 dst_sel:DWORD dst_unused:UNUSED_PAD src0_sel:WORD_0 src1_sel:DWORD
	v_lshlrev_b64 v[57:58], 3, v[2:3]
	v_lshrrev_b32_e32 v2, 23, v46
	v_add_co_u32 v114, s0, 0x800, v59
	v_lshrrev_b32_e32 v46, 23, v113
	v_add_co_ci_u32_e64 v115, s0, 0, v112, s0
	v_mul_lo_u16 v59, 0x10e, v2
	v_add_co_u32 v57, s0, s8, v57
	v_mul_lo_u16 v112, 0x10e, v46
	v_add_co_ci_u32_e64 v58, s0, s9, v58, s0
	v_sub_nc_u16 v46, v90, v59
	v_mul_u32_u24_sdwa v123, v92, v122 dst_sel:DWORD dst_unused:UNUSED_PAD src0_sel:WORD_0 src1_sel:DWORD
	v_add_co_u32 v118, s0, 0x800, v57
	v_mul_u32_u24_sdwa v122, v93, v122 dst_sel:DWORD dst_unused:UNUSED_PAD src0_sel:WORD_0 src1_sel:DWORD
	v_lshlrev_b32_sdwa v26, v26, v46 dst_sel:DWORD dst_unused:UNUSED_PAD src0_sel:DWORD src1_sel:WORD_0
	v_add_co_ci_u32_e64 v119, s0, 0, v58, s0
	v_lshrrev_b32_e32 v123, 23, v123
	v_sub_nc_u16 v59, v91, v112
	v_add_co_u32 v26, s0, s8, v26
	s_clause 0x1
	global_load_dwordx4 v[55:58], v[55:56], off offset:32
	global_load_dwordx4 v[110:113], v[110:111], off offset:32
	v_add_co_ci_u32_e64 v124, null, s9, 0, s0
	v_lshrrev_b32_e32 v127, 23, v122
	v_mul_lo_u16 v126, 0x10e, v123
	v_add_co_u32 v122, s0, 0x800, v26
	v_and_b32_e32 v59, 0xffff, v59
	v_add_co_ci_u32_e64 v123, s0, 0, v124, s0
	v_mul_lo_u16 v124, 0x10e, v127
	s_clause 0x1
	global_load_dwordx4 v[114:117], v[114:115], off offset:32
	global_load_dwordx4 v[118:121], v[118:119], off offset:32
	v_sub_nc_u16 v26, v92, v126
	v_lshlrev_b32_e32 v125, 4, v59
	v_mul_u32_u24_e32 v2, 0xca8, v2
	v_sub_nc_u16 v124, v93, v124
	v_and_b32_e32 v26, 0xffff, v26
	v_add_co_u32 v125, s0, s8, v125
	v_and_b32_e32 v146, 0xffff, v124
	v_add_co_ci_u32_e64 v127, null, s9, 0, s0
	v_lshlrev_b32_e32 v130, 4, v26
	v_add_co_u32 v126, s0, 0x800, v125
	v_lshlrev_b32_e32 v131, 4, v146
	v_add_co_ci_u32_e64 v127, s0, 0, v127, s0
	v_add_co_u32 v130, s0, s8, v130
	v_add_co_ci_u32_e64 v132, null, s9, 0, s0
	v_add_co_u32 v133, s0, s8, v131
	s_clause 0x1
	global_load_dwordx4 v[122:125], v[122:123], off offset:32
	global_load_dwordx4 v[126:129], v[126:127], off offset:32
	v_add_co_ci_u32_e64 v135, null, s9, 0, s0
	v_add_co_u32 v130, s0, 0x800, v130
	v_add_co_ci_u32_e64 v131, s0, 0, v132, s0
	v_add_co_u32 v134, s0, 0x800, v133
	v_add_co_ci_u32_e64 v135, s0, 0, v135, s0
	s_clause 0x1
	global_load_dwordx4 v[130:133], v[130:131], off offset:32
	global_load_dwordx4 v[134:137], v[134:135], off offset:32
	ds_read2_b32 v[138:139], v61 offset0:42 offset1:123
	ds_read2_b32 v[140:141], v62 offset0:84 offset1:165
	;; [unrolled: 1-line block ×4, first 2 shown]
	v_cmp_lt_u32_e64 s0, 26, v80
	s_waitcnt vmcnt(9) lgkmcnt(3)
	v_mul_f32_e32 v147, v138, v48
	v_mul_f32_e32 v148, v24, v48
	s_waitcnt lgkmcnt(2)
	v_mul_f32_e32 v48, v140, v50
	v_mul_f32_e32 v50, v22, v50
	v_fma_f32 v147, v24, v47, -v147
	v_fmac_f32_e32 v148, v138, v47
	v_fma_f32 v138, v22, v49, -v48
	v_fmac_f32_e32 v50, v140, v49
	s_waitcnt vmcnt(8)
	v_mul_f32_e32 v22, v139, v52
	v_mul_f32_e32 v52, v25, v52
	;; [unrolled: 1-line block ×3, first 2 shown]
	ds_read2_b32 v[48:49], v99 offset0:110 offset1:191
	v_mul_f32_e32 v54, v23, v54
	v_fma_f32 v140, v25, v51, -v22
	v_fmac_f32_e32 v52, v139, v51
	v_fma_f32 v51, v23, v53, -v24
	ds_read2_b32 v[22:23], v100 offset0:152 offset1:233
	v_fmac_f32_e32 v54, v141, v53
	s_waitcnt vmcnt(7) lgkmcnt(3)
	v_mul_f32_e32 v24, v142, v56
	v_mul_f32_e32 v53, v20, v56
	s_waitcnt lgkmcnt(2)
	v_mul_f32_e32 v25, v144, v58
	v_mul_f32_e32 v56, v18, v58
	s_waitcnt vmcnt(6)
	v_mul_f32_e32 v47, v143, v111
	v_fma_f32 v58, v20, v55, -v24
	v_fmac_f32_e32 v53, v142, v55
	v_fma_f32 v55, v18, v57, -v25
	v_fmac_f32_e32 v56, v144, v57
	v_fma_f32 v57, v21, v110, -v47
	v_mul_f32_e32 v111, v21, v111
	v_mul_f32_e32 v18, v145, v113
	v_mul_f32_e32 v113, v19, v113
	ds_read2_b32 v[20:21], v103 offset0:16 offset1:97
	s_waitcnt vmcnt(5) lgkmcnt(2)
	v_mul_f32_e32 v47, v48, v115
	ds_read2_b32 v[24:25], v104 offset0:58 offset1:139
	v_fmac_f32_e32 v111, v143, v110
	v_fma_f32 v110, v19, v112, -v18
	v_fmac_f32_e32 v113, v145, v112
	v_fma_f32 v47, v16, v114, -v47
	v_mul_f32_e32 v112, v16, v115
	s_waitcnt lgkmcnt(2)
	v_mul_f32_e32 v16, v22, v117
	v_mul_f32_e32 v115, v14, v117
	s_waitcnt vmcnt(4)
	v_mul_f32_e32 v18, v49, v119
	v_mul_f32_e32 v117, v17, v119
	v_fmac_f32_e32 v112, v48, v114
	v_fma_f32 v114, v14, v116, -v16
	v_fmac_f32_e32 v115, v22, v116
	v_fma_f32 v116, v17, v118, -v18
	ds_read2_b32 v[18:19], v107 offset0:92 offset1:173
	ds_read2_b32 v[16:17], v106 offset0:50 offset1:131
	v_fmac_f32_e32 v117, v49, v118
	v_mul_f32_e32 v14, v23, v121
	v_mul_f32_e32 v49, v15, v121
	s_waitcnt vmcnt(3) lgkmcnt(3)
	v_mul_f32_e32 v22, v20, v123
	v_mul_f32_e32 v118, v12, v123
	s_waitcnt lgkmcnt(2)
	v_mul_f32_e32 v48, v24, v125
	v_fma_f32 v119, v15, v120, -v14
	v_fmac_f32_e32 v49, v23, v120
	v_fma_f32 v120, v12, v122, -v22
	v_fmac_f32_e32 v118, v20, v122
	v_fma_f32 v121, v10, v124, -v48
	v_mul_f32_e32 v122, v10, v125
	s_waitcnt vmcnt(2)
	v_mul_f32_e32 v10, v21, v127
	v_mul_f32_e32 v123, v13, v127
	v_mul_f32_e32 v12, v25, v129
	v_mul_f32_e32 v125, v11, v129
	v_fmac_f32_e32 v122, v24, v124
	v_fma_f32 v124, v13, v126, -v10
	v_fmac_f32_e32 v123, v21, v126
	v_fma_f32 v126, v11, v128, -v12
	s_waitcnt vmcnt(1) lgkmcnt(1)
	v_mul_f32_e32 v11, v18, v133
	s_waitcnt lgkmcnt(0)
	v_mul_f32_e32 v10, v16, v131
	v_mul_f32_e32 v127, v8, v131
	;; [unrolled: 1-line block ×3, first 2 shown]
	s_waitcnt vmcnt(0)
	v_mul_f32_e32 v12, v17, v135
	v_fma_f32 v129, v6, v132, -v11
	v_add_f32_e32 v6, v147, v138
	v_fmac_f32_e32 v125, v25, v128
	v_fma_f32 v128, v8, v130, -v10
	v_mul_f32_e32 v8, v19, v137
	v_fmac_f32_e32 v127, v16, v130
	v_fma_f32 v130, v9, v134, -v12
	v_mul_f32_e32 v131, v9, v135
	v_add_f32_e32 v9, v44, v147
	v_fmac_f32_e32 v44, -0.5, v6
	v_sub_f32_e32 v6, v148, v50
	v_fmac_f32_e32 v48, v18, v132
	v_mul_f32_e32 v132, v7, v137
	v_fma_f32 v133, v7, v136, -v8
	v_add_f32_e32 v7, v140, v51
	v_fmamk_f32 v8, v6, 0x3f5db3d7, v44
	v_fmac_f32_e32 v44, 0xbf5db3d7, v6
	v_add_f32_e32 v6, v43, v140
	v_add_f32_e32 v10, v58, v55
	;; [unrolled: 1-line block ×3, first 2 shown]
	v_fmac_f32_e32 v43, -0.5, v7
	v_sub_f32_e32 v7, v52, v54
	v_add_f32_e32 v11, v57, v110
	v_add_f32_e32 v12, v42, v58
	v_fmac_f32_e32 v42, -0.5, v10
	v_sub_f32_e32 v10, v53, v56
	v_add_f32_e32 v6, v6, v51
	v_fmac_f32_e32 v131, v17, v134
	v_fmac_f32_e32 v132, v19, v136
	v_add_f32_e32 v13, v41, v57
	ds_read_b32 v134, v109
	ds_read_b32 v135, v108
	;; [unrolled: 1-line block ×10, first 2 shown]
	s_waitcnt lgkmcnt(0)
	s_barrier
	buffer_gl0_inv
	ds_write_b32 v38, v9
	ds_write_b32 v38, v8 offset:1080
	v_lshlrev_b32_e32 v8, 2, v45
	v_cndmask_b32_e64 v9, 0, 0xca8, s0
	v_fmac_f32_e32 v41, -0.5, v11
	v_sub_f32_e32 v11, v111, v113
	v_fmamk_f32 v14, v7, 0x3f5db3d7, v43
	v_fmac_f32_e32 v43, 0xbf5db3d7, v7
	ds_write_b32 v38, v44 offset:2160
	ds_write_b32 v109, v6
	v_add_f32_e32 v6, v12, v55
	v_fmamk_f32 v7, v10, 0x3f5db3d7, v42
	v_fmac_f32_e32 v42, 0xbf5db3d7, v10
	v_add3_u32 v44, 0, v9, v8
	v_add_f32_e32 v8, v13, v110
	v_fmamk_f32 v10, v11, 0x3f5db3d7, v41
	ds_write_b32 v109, v14 offset:1080
	ds_write_b32 v109, v43 offset:2160
	ds_write_b32 v108, v6
	ds_write_b32 v108, v7 offset:1080
	ds_write_b32 v108, v42 offset:2160
	ds_write_b32 v44, v8
	ds_write_b32 v44, v10 offset:1080
	v_add_f32_e32 v6, v47, v114
	v_add_f32_e32 v7, v116, v119
	v_add_f32_e32 v8, v39, v47
	v_add_f32_e32 v9, v40, v116
	v_lshl_add_u32 v10, v80, 2, 0
	v_fmac_f32_e32 v39, -0.5, v6
	v_sub_f32_e32 v6, v112, v115
	v_fmac_f32_e32 v41, 0xbf5db3d7, v11
	v_fmac_f32_e32 v40, -0.5, v7
	v_sub_f32_e32 v7, v117, v49
	v_add_f32_e32 v8, v8, v114
	v_fmamk_f32 v11, v6, 0x3f5db3d7, v39
	v_fmac_f32_e32 v39, 0xbf5db3d7, v6
	v_add_f32_e32 v6, v148, v50
	v_add_f32_e32 v9, v9, v119
	v_add_nc_u32_e32 v43, 0xc00, v10
	v_fmamk_f32 v12, v7, 0x3f5db3d7, v40
	v_fmac_f32_e32 v40, 0xbf5db3d7, v7
	ds_write_b32 v44, v41 offset:2160
	ds_write2_b32 v43, v8, v9 offset0:96 offset1:177
	v_add_f32_e32 v7, v52, v54
	v_add_f32_e32 v8, v136, v148
	v_fmac_f32_e32 v136, -0.5, v6
	v_sub_f32_e32 v6, v147, v138
	v_add_nc_u32_e32 v45, 0x1000, v10
	v_add_f32_e32 v9, v134, v52
	v_fmac_f32_e32 v134, -0.5, v7
	v_sub_f32_e32 v7, v140, v51
	v_add_f32_e32 v50, v8, v50
	v_fmamk_f32 v51, v6, 0xbf5db3d7, v136
	v_fmac_f32_e32 v136, 0x3f5db3d7, v6
	v_add_f32_e32 v6, v120, v121
	v_add_f32_e32 v8, v124, v126
	v_add_nc_u32_e32 v149, 0x1400, v10
	ds_write2_b32 v45, v11, v12 offset0:110 offset1:191
	ds_write2_b32 v149, v39, v40 offset0:124 offset1:205
	v_add_f32_e32 v52, v9, v54
	v_add_f32_e32 v9, v37, v120
	v_fmac_f32_e32 v37, -0.5, v6
	v_sub_f32_e32 v6, v118, v122
	v_add_f32_e32 v10, v35, v124
	v_fmac_f32_e32 v35, -0.5, v8
	v_sub_f32_e32 v8, v123, v125
	v_add_f32_e32 v11, v128, v129
	v_lshlrev_b32_sdwa v14, v27, v46 dst_sel:DWORD dst_unused:UNUSED_PAD src0_sel:DWORD src1_sel:WORD_0
	v_fmamk_f32 v54, v7, 0xbf5db3d7, v134
	v_fmac_f32_e32 v134, 0x3f5db3d7, v7
	v_fmamk_f32 v7, v6, 0x3f5db3d7, v37
	v_fmac_f32_e32 v37, 0xbf5db3d7, v6
	;; [unrolled: 2-line block ×3, first 2 shown]
	v_add_f32_e32 v8, v32, v128
	v_fmac_f32_e32 v32, -0.5, v11
	v_add_f32_e32 v11, v130, v133
	v_add3_u32 v2, 0, v2, v14
	v_add_f32_e32 v9, v9, v121
	v_sub_f32_e32 v12, v127, v48
	v_add_f32_e32 v13, v33, v130
	v_fmac_f32_e32 v33, -0.5, v11
	v_sub_f32_e32 v11, v131, v132
	v_add_f32_e32 v10, v10, v126
	v_lshl_add_u32 v46, v59, 2, 0
	ds_write_b32 v2, v9
	ds_write_b32 v2, v7 offset:1080
	ds_write_b32 v2, v37 offset:2160
	;; [unrolled: 1-line block ×3, first 2 shown]
	v_add_f32_e32 v7, v8, v129
	v_lshl_add_u32 v59, v26, 2, 0
	v_fmamk_f32 v15, v12, 0x3f5db3d7, v32
	v_fmac_f32_e32 v32, 0xbf5db3d7, v12
	v_fmamk_f32 v12, v11, 0x3f5db3d7, v33
	v_fmac_f32_e32 v33, 0xbf5db3d7, v11
	ds_write_b32 v46, v6 offset:7560
	v_add_f32_e32 v6, v13, v133
	v_lshl_add_u32 v138, v146, 2, 0
	ds_write_b32 v46, v35 offset:8640
	ds_write_b32 v59, v7 offset:6480
	;; [unrolled: 1-line block ×7, first 2 shown]
	s_waitcnt lgkmcnt(0)
	s_barrier
	buffer_gl0_inv
	ds_read_b32 v42, v109
	ds_read_b32 v26, v108
	;; [unrolled: 1-line block ×10, first 2 shown]
	ds_read2_b32 v[22:23], v61 offset0:42 offset1:123
	ds_read2_b32 v[24:25], v62 offset0:84 offset1:165
	;; [unrolled: 1-line block ×10, first 2 shown]
	s_waitcnt lgkmcnt(0)
	s_barrier
	buffer_gl0_inv
	ds_write_b32 v38, v50
	v_add_f32_e32 v50, v53, v56
	ds_write_b32 v38, v51 offset:1080
	ds_write_b32 v38, v136 offset:2160
	ds_write_b32 v109, v52
	v_add_f32_e32 v51, v135, v53
	v_add_f32_e32 v52, v111, v113
	ds_write_b32 v109, v54 offset:1080
	ds_write_b32 v109, v134 offset:2160
	v_fmac_f32_e32 v135, -0.5, v50
	v_sub_f32_e32 v50, v58, v55
	v_add_f32_e32 v51, v51, v56
	v_sub_f32_e32 v47, v47, v114
	v_add_f32_e32 v54, v144, v127
	v_add_f32_e32 v55, v145, v131
	v_fmamk_f32 v53, v50, 0xbf5db3d7, v135
	v_fmac_f32_e32 v135, 0x3f5db3d7, v50
	v_add_f32_e32 v50, v137, v111
	v_fmac_f32_e32 v137, -0.5, v52
	v_sub_f32_e32 v52, v57, v110
	ds_write_b32 v108, v51
	ds_write_b32 v108, v53 offset:1080
	ds_write_b32 v108, v135 offset:2160
	v_add_f32_e32 v50, v50, v113
	v_add_f32_e32 v53, v112, v115
	v_fmamk_f32 v51, v52, 0xbf5db3d7, v137
	v_fmac_f32_e32 v137, 0x3f5db3d7, v52
	v_add_f32_e32 v52, v139, v112
	ds_write_b32 v44, v50
	v_add_f32_e32 v50, v141, v117
	ds_write_b32 v44, v51 offset:1080
	v_fmac_f32_e32 v139, -0.5, v53
	v_add_f32_e32 v51, v52, v115
	v_add_f32_e32 v52, v117, v49
	;; [unrolled: 1-line block ×3, first 2 shown]
	ds_write_b32 v44, v137 offset:2160
	v_sub_f32_e32 v44, v116, v119
	v_add_f32_e32 v50, v142, v118
	v_fmac_f32_e32 v141, -0.5, v52
	ds_write2_b32 v43, v51, v49 offset0:96 offset1:177
	v_fmamk_f32 v43, v47, 0xbf5db3d7, v139
	v_fmac_f32_e32 v139, 0x3f5db3d7, v47
	v_add_f32_e32 v47, v118, v122
	v_fmamk_f32 v49, v44, 0xbf5db3d7, v141
	v_fmac_f32_e32 v141, 0x3f5db3d7, v44
	v_add_f32_e32 v44, v123, v125
	v_add_f32_e32 v51, v143, v123
	v_fmac_f32_e32 v142, -0.5, v47
	v_sub_f32_e32 v47, v120, v121
	v_add_f32_e32 v50, v50, v122
	v_fmac_f32_e32 v143, -0.5, v44
	v_sub_f32_e32 v44, v124, v126
	v_fmamk_f32 v52, v47, 0xbf5db3d7, v142
	v_fmac_f32_e32 v142, 0x3f5db3d7, v47
	v_add_f32_e32 v47, v51, v125
	v_add_f32_e32 v51, v127, v48
	v_fmamk_f32 v53, v44, 0xbf5db3d7, v143
	v_fmac_f32_e32 v143, 0x3f5db3d7, v44
	v_add_f32_e32 v44, v131, v132
	v_add_f32_e32 v48, v54, v48
	v_fmac_f32_e32 v144, -0.5, v51
	v_sub_f32_e32 v51, v128, v129
	v_fmac_f32_e32 v145, -0.5, v44
	v_sub_f32_e32 v44, v130, v133
	v_fmamk_f32 v54, v51, 0xbf5db3d7, v144
	v_fmac_f32_e32 v144, 0x3f5db3d7, v51
	v_add_f32_e32 v51, v55, v132
	v_fmamk_f32 v55, v44, 0xbf5db3d7, v145
	v_fmac_f32_e32 v145, 0x3f5db3d7, v44
	ds_write2_b32 v45, v43, v49 offset0:110 offset1:191
	ds_write2_b32 v149, v139, v141 offset0:124 offset1:205
	ds_write_b32 v2, v50
	ds_write_b32 v2, v52 offset:1080
	ds_write_b32 v2, v142 offset:2160
	;; [unrolled: 1-line block ×11, first 2 shown]
	s_waitcnt lgkmcnt(0)
	s_barrier
	buffer_gl0_inv
	s_and_saveexec_b32 s0, vcc_lo
	s_cbranch_execz .LBB0_15
; %bb.14:
	v_add_co_u32 v30, vcc_lo, 0x1800, v30
	v_add_co_ci_u32_e32 v31, vcc_lo, 0, v31, vcc_lo
	v_add_co_u32 v4, vcc_lo, 0x1800, v4
	v_lshlrev_b32_e32 v2, 1, v93
	v_add_co_ci_u32_e32 v5, vcc_lo, 0, v5, vcc_lo
	s_clause 0x1
	global_load_dwordx4 v[43:46], v[30:31], off offset:256
	global_load_dwordx4 v[47:50], v[4:5], off offset:256
	v_lshlrev_b64 v[4:5], 3, v[2:3]
	v_lshlrev_b32_e32 v2, 1, v92
	v_mul_i32_i24_e32 v132, 0xffffffdc, v85
	v_mad_u64_u32 v[128:129], null, s2, v82, 0
	v_mad_u64_u32 v[130:131], null, s2, v81, 0
	v_add_co_u32 v4, vcc_lo, s8, v4
	v_add_co_ci_u32_e32 v5, vcc_lo, s9, v5, vcc_lo
	v_lshlrev_b64 v[30:31], 3, v[2:3]
	v_add_co_u32 v4, vcc_lo, 0x1800, v4
	v_add_co_ci_u32_e32 v5, vcc_lo, 0, v5, vcc_lo
	v_lshlrev_b32_e32 v2, 1, v91
	v_add_nc_u32_e32 v132, v36, v132
	global_load_dwordx4 v[51:54], v[4:5], off offset:256
	v_add_co_u32 v4, vcc_lo, s8, v30
	v_add_co_ci_u32_e32 v5, vcc_lo, s9, v31, vcc_lo
	v_lshlrev_b64 v[30:31], 3, v[2:3]
	v_add_co_u32 v4, vcc_lo, 0x1800, v4
	v_add_co_ci_u32_e32 v5, vcc_lo, 0, v5, vcc_lo
	v_lshlrev_b32_e32 v2, 1, v90
	global_load_dwordx4 v[55:58], v[4:5], off offset:256
	v_add_co_u32 v4, vcc_lo, s8, v30
	v_add_co_ci_u32_e32 v5, vcc_lo, s9, v31, vcc_lo
	v_lshlrev_b64 v[30:31], 3, v[2:3]
	v_add_co_u32 v4, vcc_lo, 0x1800, v4
	v_add_co_ci_u32_e32 v5, vcc_lo, 0, v5, vcc_lo
	v_add_co_u32 v2, vcc_lo, s8, v30
	global_load_dwordx4 v[90:93], v[4:5], off offset:256
	v_add_co_ci_u32_e32 v5, vcc_lo, s9, v31, vcc_lo
	v_add_co_u32 v4, vcc_lo, 0x1800, v2
	v_lshlrev_b32_e32 v2, 1, v89
	v_add_co_ci_u32_e32 v5, vcc_lo, 0, v5, vcc_lo
	v_mul_i32_i24_e32 v89, 0xffffffdc, v86
	global_load_dwordx4 v[108:111], v[4:5], off offset:256
	v_lshlrev_b64 v[4:5], 3, v[2:3]
	v_add_nc_u32_e32 v134, v34, v89
	v_mov_b32_e32 v89, v129
	v_add_co_u32 v2, vcc_lo, s8, v4
	v_add_co_ci_u32_e32 v5, vcc_lo, s9, v5, vcc_lo
	v_add_co_u32 v4, vcc_lo, 0x1800, v2
	v_add_co_ci_u32_e32 v5, vcc_lo, 0, v5, vcc_lo
	v_lshlrev_b32_e32 v2, 1, v88
	global_load_dwordx4 v[112:115], v[4:5], off offset:256
	v_lshlrev_b64 v[4:5], 3, v[2:3]
	v_add_co_u32 v2, vcc_lo, s8, v4
	v_add_co_ci_u32_e32 v5, vcc_lo, s9, v5, vcc_lo
	v_add_co_u32 v4, vcc_lo, 0x1800, v2
	v_lshlrev_b32_e32 v2, 1, v87
	v_add_co_ci_u32_e32 v5, vcc_lo, 0, v5, vcc_lo
	v_lshlrev_b64 v[2:3], 3, v[2:3]
	global_load_dwordx4 v[116:119], v[4:5], off offset:256
	v_add_co_u32 v2, vcc_lo, s8, v2
	v_add_co_ci_u32_e32 v3, vcc_lo, s9, v3, vcc_lo
	v_add_co_u32 v2, vcc_lo, 0x1800, v2
	v_add_co_ci_u32_e32 v3, vcc_lo, 0, v3, vcc_lo
	;; [unrolled: 2-line block ×3, first 2 shown]
	s_clause 0x1
	global_load_dwordx4 v[120:123], v[2:3], off offset:256
	global_load_dwordx4 v[124:127], v[4:5], off offset:256
	ds_read2_b32 v[2:3], v106 offset0:50 offset1:131
	ds_read2_b32 v[4:5], v107 offset0:92 offset1:173
	;; [unrolled: 1-line block ×10, first 2 shown]
	ds_read_b32 v105, v105
	ds_read_b32 v135, v102
	;; [unrolled: 1-line block ×8, first 2 shown]
	v_mad_u64_u32 v[59:60], null, s2, v80, 0
	v_mad_u64_u32 v[97:98], null, s2, v84, 0
	;; [unrolled: 1-line block ×3, first 2 shown]
	v_add_co_u32 v28, vcc_lo, s12, v0
	v_add_co_ci_u32_e32 v29, vcc_lo, s13, v1, vcc_lo
	v_mad_u64_u32 v[0:1], null, s2, v83, 0
	v_mov_b32_e32 v34, v60
	v_mov_b32_e32 v36, v98
	;; [unrolled: 1-line block ×4, first 2 shown]
	ds_read_b32 v129, v132
	v_mad_u64_u32 v[131:132], null, s3, v80, v[34:35]
	ds_read_b32 v34, v134
	s_waitcnt lgkmcnt(19)
	v_mad_u64_u32 v[132:133], null, s3, v83, v[1:2]
	v_mad_u64_u32 v[83:84], null, s3, v84, v[36:37]
	;; [unrolled: 1-line block ×3, first 2 shown]
	v_mov_b32_e32 v60, v131
	s_waitcnt lgkmcnt(12)
	v_mad_u64_u32 v[80:81], null, s3, v81, v[94:95]
	v_mov_b32_e32 v1, v132
	v_mov_b32_e32 v98, v83
	v_lshlrev_b64 v[59:60], 3, v[59:60]
	v_mov_b32_e32 v102, v79
	v_lshlrev_b64 v[0:1], 3, v[0:1]
	v_mov_b32_e32 v131, v80
	v_add_co_u32 v59, vcc_lo, v28, v59
	v_add_co_ci_u32_e32 v60, vcc_lo, v29, v60, vcc_lo
	v_add_co_u32 v0, vcc_lo, v28, v0
	v_add_co_ci_u32_e32 v1, vcc_lo, v29, v1, vcc_lo
	s_waitcnt vmcnt(9) lgkmcnt(11)
	v_mul_f32_e32 v36, v44, v107
	s_waitcnt lgkmcnt(10)
	v_mul_f32_e32 v38, v46, v62
	v_mul_f32_e32 v79, v43, v107
	;; [unrolled: 1-line block ×3, first 2 shown]
	s_waitcnt vmcnt(8)
	v_mul_f32_e32 v83, v48, v106
	v_mul_f32_e32 v84, v50, v61
	;; [unrolled: 1-line block ×3, first 2 shown]
	v_fma_f32 v36, v23, v43, -v36
	v_fma_f32 v38, v25, v45, -v38
	v_fmac_f32_e32 v79, v23, v44
	v_fmac_f32_e32 v62, v25, v46
	v_fma_f32 v23, v22, v47, -v83
	v_fma_f32 v46, v24, v49, -v84
	v_fmac_f32_e32 v61, v24, v50
	s_waitcnt lgkmcnt(0)
	v_add_f32_e32 v24, v79, v34
	v_add_f32_e32 v25, v36, v38
	v_sub_f32_e32 v49, v79, v62
	v_add_f32_e32 v83, v23, v46
	v_sub_f32_e32 v50, v23, v46
	v_add_f32_e32 v45, v62, v24
	s_waitcnt vmcnt(5)
	v_mad_u64_u32 v[133:134], null, s3, v82, v[89:90]
	v_mul_f32_e32 v89, v47, v106
	v_lshlrev_b64 v[81:82], 3, v[97:98]
	v_fmac_f32_e32 v89, v22, v48
	v_sub_f32_e32 v48, v36, v38
	v_add_f32_e32 v22, v79, v62
	v_add_f32_e32 v36, v42, v36
	v_fma_f32 v42, -0.5, v25, v42
	v_add_f32_e32 v47, v89, v61
	v_add_f32_e32 v79, v89, v141
	v_sub_f32_e32 v84, v89, v61
	v_add_f32_e32 v89, v41, v23
	v_fma_f32 v43, -0.5, v22, v34
	v_add_f32_e32 v44, v36, v38
	v_fma_f32 v23, -0.5, v47, v141
	;; [unrolled: 2-line block ×3, first 2 shown]
	v_add_f32_e32 v24, v89, v46
	v_mul_f32_e32 v34, v52, v3
	v_mul_f32_e32 v36, v54, v5
	;; [unrolled: 1-line block ×4, first 2 shown]
	v_add_co_u32 v81, vcc_lo, v28, v81
	v_fmamk_f32 v47, v48, 0x3f5db3d7, v43
	v_fmac_f32_e32 v43, 0xbf5db3d7, v48
	v_fmamk_f32 v46, v49, 0xbf5db3d7, v42
	v_fmac_f32_e32 v42, 0x3f5db3d7, v49
	;; [unrolled: 2-line block ×4, first 2 shown]
	global_store_dwordx2 v[59:60], v[24:25], off
	v_fma_f32 v24, v19, v51, -v34
	v_fma_f32 v25, v21, v53, -v36
	v_fmac_f32_e32 v3, v19, v52
	v_fmac_f32_e32 v5, v21, v54
	v_mul_f32_e32 v19, v56, v2
	v_mul_f32_e32 v21, v58, v4
	;; [unrolled: 1-line block ×4, first 2 shown]
	v_add_co_ci_u32_e32 v82, vcc_lo, v29, v82, vcc_lo
	global_store_dwordx2 v[0:1], v[22:23], off
	global_store_dwordx2 v[81:82], v[48:49], off
	v_sub_f32_e32 v4, v24, v25
	v_add_f32_e32 v0, v3, v5
	v_add_f32_e32 v2, v3, v105
	;; [unrolled: 1-line block ×4, first 2 shown]
	v_fma_f32 v19, v18, v55, -v19
	v_fma_f32 v21, v20, v57, -v21
	v_fmac_f32_e32 v34, v18, v56
	v_fmac_f32_e32 v36, v20, v58
	v_mul_f32_e32 v18, v91, v31
	v_mul_f32_e32 v20, v93, v86
	;; [unrolled: 1-line block ×4, first 2 shown]
	v_sub_f32_e32 v23, v3, v5
	v_fma_f32 v1, -0.5, v0, v105
	v_add_f32_e32 v3, v5, v2
	v_fma_f32 v0, -0.5, v22, v40
	v_add_f32_e32 v2, v24, v25
	v_sub_f32_e32 v22, v19, v21
	v_add_f32_e32 v24, v34, v36
	v_add_f32_e32 v25, v34, v135
	;; [unrolled: 1-line block ×4, first 2 shown]
	v_fma_f32 v41, v15, v90, -v18
	v_fma_f32 v48, v17, v92, -v20
	v_fmac_f32_e32 v31, v15, v91
	v_fmac_f32_e32 v38, v17, v93
	s_waitcnt vmcnt(4)
	v_mul_f32_e32 v15, v109, v30
	v_mul_f32_e32 v49, v111, v85
	;; [unrolled: 1-line block ×4, first 2 shown]
	v_sub_f32_e32 v34, v34, v36
	v_fmamk_f32 v5, v4, 0x3f5db3d7, v1
	v_fmac_f32_e32 v1, 0xbf5db3d7, v4
	v_fmamk_f32 v4, v23, 0xbf5db3d7, v0
	v_fmac_f32_e32 v0, 0x3f5db3d7, v23
	v_fma_f32 v18, -0.5, v24, v135
	v_add_f32_e32 v20, v36, v25
	v_fma_f32 v17, -0.5, v40, v39
	v_add_f32_e32 v19, v19, v21
	v_sub_f32_e32 v23, v41, v48
	v_add_f32_e32 v21, v31, v38
	v_add_f32_e32 v25, v41, v48
	;; [unrolled: 1-line block ×3, first 2 shown]
	v_fma_f32 v39, v14, v108, -v15
	v_fma_f32 v40, v16, v110, -v49
	v_fmac_f32_e32 v50, v14, v109
	v_fmac_f32_e32 v51, v16, v111
	s_waitcnt vmcnt(3)
	v_mul_f32_e32 v16, v113, v88
	v_mul_f32_e32 v41, v115, v100
	;; [unrolled: 1-line block ×4, first 2 shown]
	v_add_f32_e32 v24, v31, v136
	v_sub_f32_e32 v36, v31, v38
	v_fmamk_f32 v15, v22, 0x3f5db3d7, v18
	v_fmac_f32_e32 v18, 0xbf5db3d7, v22
	v_fmamk_f32 v14, v34, 0xbf5db3d7, v17
	v_fmac_f32_e32 v17, 0x3f5db3d7, v34
	v_fma_f32 v22, -0.5, v21, v136
	v_fma_f32 v21, -0.5, v25, v37
	v_add_f32_e32 v30, v30, v48
	v_sub_f32_e32 v25, v39, v40
	v_add_f32_e32 v34, v50, v51
	v_add_f32_e32 v37, v50, v137
	;; [unrolled: 1-line block ×4, first 2 shown]
	v_fma_f32 v16, v11, v112, -v16
	v_fma_f32 v41, v13, v114, -v41
	v_fmac_f32_e32 v49, v11, v113
	v_fmac_f32_e32 v52, v13, v115
	s_waitcnt vmcnt(2)
	v_mul_f32_e32 v11, v117, v87
	v_mul_f32_e32 v13, v119, v99
	;; [unrolled: 1-line block ×4, first 2 shown]
	v_add_f32_e32 v31, v38, v24
	v_sub_f32_e32 v50, v50, v51
	v_fmamk_f32 v24, v23, 0x3f5db3d7, v22
	v_fmac_f32_e32 v22, 0xbf5db3d7, v23
	v_fmamk_f32 v23, v36, 0xbf5db3d7, v21
	v_fmac_f32_e32 v21, 0x3f5db3d7, v36
	v_fma_f32 v36, -0.5, v34, v137
	v_add_f32_e32 v38, v51, v37
	v_fma_f32 v35, -0.5, v48, v35
	v_add_f32_e32 v37, v39, v40
	v_sub_f32_e32 v39, v16, v41
	v_add_f32_e32 v34, v49, v52
	v_add_f32_e32 v40, v49, v138
	;; [unrolled: 1-line block ×4, first 2 shown]
	v_fma_f32 v51, v10, v116, -v11
	v_fma_f32 v55, v12, v118, -v13
	v_fmac_f32_e32 v53, v10, v117
	s_waitcnt vmcnt(1)
	v_mul_f32_e32 v56, v121, v104
	v_mul_f32_e32 v57, v123, v96
	s_waitcnt vmcnt(0)
	v_mul_f32_e32 v62, v124, v103
	v_mul_f32_e32 v79, v126, v95
	v_fmac_f32_e32 v54, v12, v119
	v_mul_f32_e32 v60, v125, v103
	v_mul_f32_e32 v61, v127, v95
	v_sub_f32_e32 v49, v49, v52
	v_mul_f32_e32 v58, v120, v104
	v_fma_f32 v13, -0.5, v34, v138
	v_add_f32_e32 v34, v52, v40
	v_fma_f32 v12, -0.5, v48, v33
	v_add_f32_e32 v33, v16, v41
	v_sub_f32_e32 v16, v51, v55
	v_add_f32_e32 v40, v53, v139
	v_add_f32_e32 v41, v51, v55
	;; [unrolled: 1-line block ×3, first 2 shown]
	v_fma_f32 v51, v7, v120, -v56
	v_fma_f32 v52, v9, v122, -v57
	v_fmac_f32_e32 v62, v6, v125
	v_fmac_f32_e32 v79, v8, v127
	v_fmamk_f32 v11, v25, 0x3f5db3d7, v36
	v_fmac_f32_e32 v36, 0xbf5db3d7, v25
	v_fmamk_f32 v10, v50, 0xbf5db3d7, v35
	v_fmac_f32_e32 v35, 0x3f5db3d7, v50
	v_add_f32_e32 v25, v53, v54
	v_sub_f32_e32 v50, v53, v54
	v_fma_f32 v53, v6, v124, -v60
	v_fma_f32 v56, v8, v126, -v61
	v_mul_f32_e32 v59, v122, v96
	v_fmac_f32_e32 v58, v7, v121
	v_add_f32_e32 v40, v54, v40
	v_fma_f32 v8, -0.5, v41, v32
	v_add_f32_e32 v54, v51, v52
	v_add_f32_e32 v57, v62, v79
	;; [unrolled: 1-line block ×4, first 2 shown]
	v_fmac_f32_e32 v59, v9, v123
	v_fmamk_f32 v7, v39, 0x3f5db3d7, v13
	v_fmac_f32_e32 v13, 0xbf5db3d7, v39
	v_add_f32_e32 v39, v48, v55
	v_add_f32_e32 v41, v58, v140
	;; [unrolled: 1-line block ×3, first 2 shown]
	v_sub_f32_e32 v60, v53, v56
	v_add_f32_e32 v61, v62, v129
	v_fmamk_f32 v48, v50, 0xbf5db3d7, v8
	v_fmac_f32_e32 v8, 0x3f5db3d7, v50
	v_fma_f32 v50, -0.5, v54, v27
	v_fma_f32 v27, -0.5, v57, v129
	;; [unrolled: 1-line block ×3, first 2 shown]
	v_add_f32_e32 v54, v82, v56
	v_mov_b32_e32 v129, v133
	v_mad_u64_u32 v[81:82], null, s2, v76, 0
	v_fma_f32 v9, -0.5, v25, v139
	v_sub_f32_e32 v25, v51, v52
	v_add_f32_e32 v32, v58, v59
	v_sub_f32_e32 v58, v58, v59
	v_add_f32_e32 v53, v59, v41
	v_add_f32_e32 v52, v55, v52
	;; [unrolled: 1-line block ×3, first 2 shown]
	v_fmamk_f32 v59, v60, 0x3f5db3d7, v27
	v_fmac_f32_e32 v27, 0xbf5db3d7, v60
	v_lshlrev_b64 v[60:61], 3, v[101:102]
	v_sub_f32_e32 v62, v62, v79
	v_lshlrev_b64 v[79:80], 3, v[128:129]
	v_fmamk_f32 v6, v49, 0xbf5db3d7, v12
	v_fmac_f32_e32 v12, 0x3f5db3d7, v49
	v_fmamk_f32 v49, v16, 0x3f5db3d7, v9
	v_fmac_f32_e32 v9, 0xbf5db3d7, v16
	v_add_co_u32 v60, vcc_lo, v28, v60
	v_lshlrev_b64 v[83:84], 3, v[130:131]
	v_mov_b32_e32 v16, v82
	v_mad_u64_u32 v[85:86], null, s2, v78, 0
	v_add_co_ci_u32_e32 v61, vcc_lo, v29, v61, vcc_lo
	v_add_co_u32 v79, vcc_lo, v28, v79
	v_add_co_ci_u32_e32 v80, vcc_lo, v29, v80, vcc_lo
	v_mad_u64_u32 v[87:88], null, s3, v76, v[16:17]
	v_add_co_u32 v83, vcc_lo, v28, v83
	v_mad_u64_u32 v[88:89], null, s2, v77, 0
	v_add_co_ci_u32_e32 v84, vcc_lo, v29, v84, vcc_lo
	v_mov_b32_e32 v16, v86
	global_store_dwordx2 v[60:61], v[44:45], off
	global_store_dwordx2 v[79:80], v[42:43], off
	;; [unrolled: 1-line block ×3, first 2 shown]
	v_mad_u64_u32 v[43:44], null, s2, v73, 0
	v_mov_b32_e32 v82, v87
	v_mad_u64_u32 v[86:87], null, s3, v78, v[16:17]
	v_mov_b32_e32 v16, v89
	v_mad_u64_u32 v[60:61], null, s2, v75, 0
	v_lshlrev_b64 v[41:42], 3, v[81:82]
	v_mad_u64_u32 v[79:80], null, s2, v74, 0
	v_mad_u64_u32 v[45:46], null, s3, v77, v[16:17]
	v_mov_b32_e32 v16, v44
	v_lshlrev_b64 v[46:47], 3, v[85:86]
	v_add_co_u32 v41, vcc_lo, v28, v41
	v_add_co_ci_u32_e32 v42, vcc_lo, v29, v42, vcc_lo
	v_mad_u64_u32 v[76:77], null, s3, v73, v[16:17]
	v_mov_b32_e32 v89, v45
	v_add_co_u32 v45, vcc_lo, v28, v46
	v_fmamk_f32 v56, v58, 0xbf5db3d7, v50
	v_fmac_f32_e32 v50, 0x3f5db3d7, v58
	v_fmamk_f32 v58, v62, 0xbf5db3d7, v26
	v_fmac_f32_e32 v26, 0x3f5db3d7, v62
	v_add_co_ci_u32_e32 v46, vcc_lo, v29, v47, vcc_lo
	v_mov_b32_e32 v16, v61
	v_fma_f32 v51, -0.5, v32, v140
	v_mov_b32_e32 v44, v76
	global_store_dwordx2 v[41:42], v[54:55], off
	global_store_dwordx2 v[45:46], v[26:27], off
	v_mul_hi_u32 v27, 0x50e89cc3, v70
	v_mad_u64_u32 v[61:62], null, s3, v75, v[16:17]
	v_mov_b32_e32 v16, v80
	v_fmamk_f32 v57, v25, 0x3f5db3d7, v51
	v_fmac_f32_e32 v51, 0xbf5db3d7, v25
	v_lshlrev_b64 v[77:78], 3, v[88:89]
	v_lshlrev_b64 v[25:26], 3, v[43:44]
	v_mad_u64_u32 v[44:45], null, s2, v69, 0
	v_mad_u64_u32 v[41:42], null, s3, v74, v[16:17]
	v_lshrrev_b32_e32 v27, 8, v27
	v_add_co_u32 v75, vcc_lo, v28, v77
	v_add_co_ci_u32_e32 v76, vcc_lo, v29, v78, vcc_lo
	v_mov_b32_e32 v16, v45
	v_mad_u64_u32 v[54:55], null, s2, v72, 0
	v_mad_u32_u24 v32, 0x654, v27, v70
	v_mov_b32_e32 v80, v41
	global_store_dwordx2 v[75:76], v[58:59], off
	v_lshlrev_b64 v[42:43], 3, v[60:61]
	v_mad_u64_u32 v[58:59], null, s3, v69, v[16:17]
	v_mad_u64_u32 v[59:60], null, s2, v71, 0
	;; [unrolled: 1-line block ×3, first 2 shown]
	v_add_co_u32 v25, vcc_lo, v28, v25
	v_lshlrev_b64 v[46:47], 3, v[79:80]
	v_mov_b32_e32 v16, v55
	v_add_co_ci_u32_e32 v26, vcc_lo, v29, v26, vcc_lo
	v_add_co_u32 v41, vcc_lo, v28, v42
	v_add_co_ci_u32_e32 v42, vcc_lo, v29, v43, vcc_lo
	v_add_co_u32 v46, vcc_lo, v28, v46
	v_mad_u64_u32 v[69:70], null, s3, v72, v[16:17]
	v_mov_b32_e32 v16, v60
	v_mov_b32_e32 v27, v62
	v_add_co_ci_u32_e32 v47, vcc_lo, v29, v47, vcc_lo
	global_store_dwordx2 v[25:26], v[52:53], off
	global_store_dwordx2 v[41:42], v[50:51], off
	global_store_dwordx2 v[46:47], v[56:57], off
	v_mad_u64_u32 v[41:42], null, s3, v71, v[16:17]
	v_mov_b32_e32 v45, v58
	v_mad_u64_u32 v[42:43], null, s3, v32, v[27:28]
	v_add_nc_u32_e32 v27, 0x32a, v32
	v_mul_hi_u32 v16, 0x50e89cc3, v68
	v_lshlrev_b64 v[25:26], 3, v[44:45]
	v_mov_b32_e32 v55, v69
	v_mov_b32_e32 v60, v41
	v_mad_u64_u32 v[45:46], null, s2, v27, 0
	v_mov_b32_e32 v62, v42
	v_lshlrev_b64 v[43:44], 3, v[54:55]
	v_lshrrev_b32_e32 v50, 8, v16
	v_add_co_u32 v25, vcc_lo, v28, v25
	v_add_nc_u32_e32 v32, 0x654, v32
	v_mov_b32_e32 v16, v46
	v_add_co_ci_u32_e32 v26, vcc_lo, v29, v26, vcc_lo
	v_lshlrev_b64 v[46:47], 3, v[61:62]
	v_mad_u32_u24 v61, 0x654, v50, v68
	v_add_co_u32 v41, vcc_lo, v28, v43
	v_add_co_ci_u32_e32 v42, vcc_lo, v29, v44, vcc_lo
	v_lshlrev_b64 v[43:44], 3, v[59:60]
	v_mad_u64_u32 v[50:51], null, s3, v27, v[16:17]
	v_mad_u64_u32 v[51:52], null, s2, v32, 0
	;; [unrolled: 1-line block ×3, first 2 shown]
	v_add_co_u32 v43, vcc_lo, v28, v43
	v_add_co_ci_u32_e32 v44, vcc_lo, v29, v44, vcc_lo
	v_add_co_u32 v55, vcc_lo, v28, v46
	v_mov_b32_e32 v16, v52
	v_mov_b32_e32 v27, v54
	v_add_co_ci_u32_e32 v56, vcc_lo, v29, v47, vcc_lo
	v_add_nc_u32_e32 v47, 0x32a, v61
	v_mad_u64_u32 v[57:58], null, s3, v32, v[16:17]
	v_mad_u64_u32 v[58:59], null, s3, v61, v[27:28]
	;; [unrolled: 1-line block ×3, first 2 shown]
	v_mov_b32_e32 v46, v50
	global_store_dwordx2 v[25:26], v[39:40], off
	global_store_dwordx2 v[41:42], v[8:9], off
	;; [unrolled: 1-line block ×3, first 2 shown]
	v_mov_b32_e32 v52, v57
	global_store_dwordx2 v[55:56], v[33:34], off
	v_mov_b32_e32 v54, v58
	v_lshlrev_b64 v[8:9], 3, v[45:46]
	v_mov_b32_e32 v16, v60
	v_lshlrev_b64 v[25:26], 3, v[51:52]
	v_mad_u64_u32 v[42:43], null, s2, v65, 0
	v_lshlrev_b64 v[32:33], 3, v[53:54]
	v_mad_u64_u32 v[39:40], null, s3, v47, v[16:17]
	v_add_nc_u32_e32 v16, 0x654, v61
	v_add_co_u32 v8, vcc_lo, v28, v8
	v_add_co_ci_u32_e32 v9, vcc_lo, v29, v9, vcc_lo
	v_mad_u64_u32 v[40:41], null, s2, v16, 0
	v_add_co_u32 v25, vcc_lo, v28, v25
	global_store_dwordx2 v[8:9], v[12:13], off
	v_add_co_ci_u32_e32 v26, vcc_lo, v29, v26, vcc_lo
	v_add_co_u32 v32, vcc_lo, v28, v32
	v_mov_b32_e32 v8, v41
	v_mov_b32_e32 v60, v39
	v_add_co_ci_u32_e32 v33, vcc_lo, v29, v33, vcc_lo
	global_store_dwordx2 v[25:26], v[6:7], off
	global_store_dwordx2 v[32:33], v[37:38], off
	v_mad_u64_u32 v[8:9], null, s3, v16, v[8:9]
	v_mov_b32_e32 v9, v43
	v_lshlrev_b64 v[6:7], 3, v[59:60]
	v_mad_u64_u32 v[12:13], null, s2, v67, 0
	v_mul_hi_u32 v16, 0x50e89cc3, v64
	v_mad_u64_u32 v[25:26], null, s3, v65, v[9:10]
	v_mov_b32_e32 v41, v8
	v_mad_u64_u32 v[8:9], null, s2, v66, 0
	v_add_co_u32 v6, vcc_lo, v28, v6
	v_add_co_ci_u32_e32 v7, vcc_lo, v29, v7, vcc_lo
	v_mov_b32_e32 v43, v25
	v_mad_u64_u32 v[25:26], null, s3, v67, v[13:14]
	v_lshrrev_b32_e32 v13, 8, v16
	global_store_dwordx2 v[6:7], v[35:36], off
	v_lshlrev_b64 v[6:7], 3, v[40:41]
	v_mad_u64_u32 v[32:33], null, s3, v66, v[9:10]
	v_mad_u32_u24 v16, 0x654, v13, v64
	v_lshlrev_b64 v[26:27], 3, v[42:43]
	v_mov_b32_e32 v13, v25
	v_add_co_u32 v6, vcc_lo, v28, v6
	v_mad_u64_u32 v[33:34], null, s2, v16, 0
	v_add_co_ci_u32_e32 v7, vcc_lo, v29, v7, vcc_lo
	v_mov_b32_e32 v9, v32
	v_add_co_u32 v25, vcc_lo, v28, v26
	global_store_dwordx2 v[6:7], v[10:11], off
	v_mov_b32_e32 v6, v34
	v_lshlrev_b64 v[7:8], 3, v[8:9]
	v_add_co_ci_u32_e32 v26, vcc_lo, v29, v27, vcc_lo
	v_lshlrev_b64 v[10:11], 3, v[12:13]
	v_mad_u64_u32 v[12:13], null, s3, v16, v[6:7]
	global_store_dwordx2 v[25:26], v[30:31], off
	v_mul_hi_u32 v25, 0x50e89cc3, v63
	v_add_nc_u32_e32 v13, 0x32a, v16
	v_add_co_u32 v9, vcc_lo, v28, v10
	v_add_co_ci_u32_e32 v10, vcc_lo, v29, v11, vcc_lo
	v_add_co_u32 v6, vcc_lo, v28, v7
	v_mov_b32_e32 v34, v12
	v_mad_u64_u32 v[11:12], null, s2, v13, 0
	v_add_co_ci_u32_e32 v7, vcc_lo, v29, v8, vcc_lo
	v_lshrrev_b32_e32 v8, 8, v25
	v_add_nc_u32_e32 v16, 0x654, v16
	global_store_dwordx2 v[9:10], v[21:22], off
	global_store_dwordx2 v[6:7], v[23:24], off
	v_mov_b32_e32 v10, v12
	v_mad_u32_u24 v25, 0x654, v8, v63
	v_mad_u64_u32 v[8:9], null, s2, v16, 0
	v_lshlrev_b64 v[6:7], 3, v[33:34]
	v_mad_u64_u32 v[12:13], null, s3, v13, v[10:11]
	v_mad_u64_u32 v[21:22], null, s2, v25, 0
	v_add_nc_u32_e32 v13, 0x32a, v25
	v_mad_u64_u32 v[9:10], null, s3, v16, v[9:10]
	v_add_co_u32 v6, vcc_lo, v28, v6
	v_mad_u64_u32 v[23:24], null, s2, v13, 0
	v_mov_b32_e32 v10, v22
	v_add_nc_u32_e32 v16, 0x654, v25
	v_add_co_ci_u32_e32 v7, vcc_lo, v29, v7, vcc_lo
	v_lshlrev_b64 v[8:9], 3, v[8:9]
	v_mad_u64_u32 v[25:26], null, s3, v25, v[10:11]
	v_mad_u64_u32 v[26:27], null, s2, v16, 0
	global_store_dwordx2 v[6:7], v[19:20], off
	v_mov_b32_e32 v6, v24
	v_lshlrev_b64 v[10:11], 3, v[11:12]
	v_mov_b32_e32 v22, v25
	v_mad_u64_u32 v[6:7], null, s3, v13, v[6:7]
	v_mov_b32_e32 v7, v27
	v_add_co_u32 v10, vcc_lo, v28, v10
	v_lshlrev_b64 v[19:20], 3, v[21:22]
	v_add_co_ci_u32_e32 v11, vcc_lo, v29, v11, vcc_lo
	v_mad_u64_u32 v[12:13], null, s3, v16, v[7:8]
	v_mov_b32_e32 v24, v6
	v_add_co_u32 v6, vcc_lo, v28, v8
	v_add_co_ci_u32_e32 v7, vcc_lo, v29, v9, vcc_lo
	v_lshlrev_b64 v[8:9], 3, v[23:24]
	v_mov_b32_e32 v27, v12
	v_add_co_u32 v12, vcc_lo, v28, v19
	v_add_co_ci_u32_e32 v13, vcc_lo, v29, v20, vcc_lo
	v_lshlrev_b64 v[19:20], 3, v[26:27]
	v_add_co_u32 v8, vcc_lo, v28, v8
	v_add_co_ci_u32_e32 v9, vcc_lo, v29, v9, vcc_lo
	v_add_co_u32 v19, vcc_lo, v28, v19
	v_add_co_ci_u32_e32 v20, vcc_lo, v29, v20, vcc_lo
	global_store_dwordx2 v[10:11], v[17:18], off
	global_store_dwordx2 v[6:7], v[14:15], off
	;; [unrolled: 1-line block ×5, first 2 shown]
.LBB0_15:
	s_endpgm
	.section	.rodata,"a",@progbits
	.p2align	6, 0x0
	.amdhsa_kernel fft_rtc_fwd_len2430_factors_10_3_3_3_3_3_wgs_81_tpt_81_halfLds_sp_ip_CI_sbrr_dirReg
		.amdhsa_group_segment_fixed_size 0
		.amdhsa_private_segment_fixed_size 0
		.amdhsa_kernarg_size 88
		.amdhsa_user_sgpr_count 6
		.amdhsa_user_sgpr_private_segment_buffer 1
		.amdhsa_user_sgpr_dispatch_ptr 0
		.amdhsa_user_sgpr_queue_ptr 0
		.amdhsa_user_sgpr_kernarg_segment_ptr 1
		.amdhsa_user_sgpr_dispatch_id 0
		.amdhsa_user_sgpr_flat_scratch_init 0
		.amdhsa_user_sgpr_private_segment_size 0
		.amdhsa_wavefront_size32 1
		.amdhsa_uses_dynamic_stack 0
		.amdhsa_system_sgpr_private_segment_wavefront_offset 0
		.amdhsa_system_sgpr_workgroup_id_x 1
		.amdhsa_system_sgpr_workgroup_id_y 0
		.amdhsa_system_sgpr_workgroup_id_z 0
		.amdhsa_system_sgpr_workgroup_info 0
		.amdhsa_system_vgpr_workitem_id 0
		.amdhsa_next_free_vgpr 170
		.amdhsa_next_free_sgpr 23
		.amdhsa_reserve_vcc 1
		.amdhsa_reserve_flat_scratch 0
		.amdhsa_float_round_mode_32 0
		.amdhsa_float_round_mode_16_64 0
		.amdhsa_float_denorm_mode_32 3
		.amdhsa_float_denorm_mode_16_64 3
		.amdhsa_dx10_clamp 1
		.amdhsa_ieee_mode 1
		.amdhsa_fp16_overflow 0
		.amdhsa_workgroup_processor_mode 1
		.amdhsa_memory_ordered 1
		.amdhsa_forward_progress 0
		.amdhsa_shared_vgpr_count 0
		.amdhsa_exception_fp_ieee_invalid_op 0
		.amdhsa_exception_fp_denorm_src 0
		.amdhsa_exception_fp_ieee_div_zero 0
		.amdhsa_exception_fp_ieee_overflow 0
		.amdhsa_exception_fp_ieee_underflow 0
		.amdhsa_exception_fp_ieee_inexact 0
		.amdhsa_exception_int_div_zero 0
	.end_amdhsa_kernel
	.text
.Lfunc_end0:
	.size	fft_rtc_fwd_len2430_factors_10_3_3_3_3_3_wgs_81_tpt_81_halfLds_sp_ip_CI_sbrr_dirReg, .Lfunc_end0-fft_rtc_fwd_len2430_factors_10_3_3_3_3_3_wgs_81_tpt_81_halfLds_sp_ip_CI_sbrr_dirReg
                                        ; -- End function
	.section	.AMDGPU.csdata,"",@progbits
; Kernel info:
; codeLenInByte = 20712
; NumSgprs: 25
; NumVgprs: 170
; ScratchSize: 0
; MemoryBound: 0
; FloatMode: 240
; IeeeMode: 1
; LDSByteSize: 0 bytes/workgroup (compile time only)
; SGPRBlocks: 3
; VGPRBlocks: 21
; NumSGPRsForWavesPerEU: 25
; NumVGPRsForWavesPerEU: 170
; Occupancy: 5
; WaveLimiterHint : 1
; COMPUTE_PGM_RSRC2:SCRATCH_EN: 0
; COMPUTE_PGM_RSRC2:USER_SGPR: 6
; COMPUTE_PGM_RSRC2:TRAP_HANDLER: 0
; COMPUTE_PGM_RSRC2:TGID_X_EN: 1
; COMPUTE_PGM_RSRC2:TGID_Y_EN: 0
; COMPUTE_PGM_RSRC2:TGID_Z_EN: 0
; COMPUTE_PGM_RSRC2:TIDIG_COMP_CNT: 0
	.text
	.p2alignl 6, 3214868480
	.fill 48, 4, 3214868480
	.type	__hip_cuid_a19fd314095b9685,@object ; @__hip_cuid_a19fd314095b9685
	.section	.bss,"aw",@nobits
	.globl	__hip_cuid_a19fd314095b9685
__hip_cuid_a19fd314095b9685:
	.byte	0                               ; 0x0
	.size	__hip_cuid_a19fd314095b9685, 1

	.ident	"AMD clang version 19.0.0git (https://github.com/RadeonOpenCompute/llvm-project roc-6.4.0 25133 c7fe45cf4b819c5991fe208aaa96edf142730f1d)"
	.section	".note.GNU-stack","",@progbits
	.addrsig
	.addrsig_sym __hip_cuid_a19fd314095b9685
	.amdgpu_metadata
---
amdhsa.kernels:
  - .args:
      - .actual_access:  read_only
        .address_space:  global
        .offset:         0
        .size:           8
        .value_kind:     global_buffer
      - .offset:         8
        .size:           8
        .value_kind:     by_value
      - .actual_access:  read_only
        .address_space:  global
        .offset:         16
        .size:           8
        .value_kind:     global_buffer
      - .actual_access:  read_only
        .address_space:  global
        .offset:         24
        .size:           8
        .value_kind:     global_buffer
      - .offset:         32
        .size:           8
        .value_kind:     by_value
      - .actual_access:  read_only
        .address_space:  global
        .offset:         40
        .size:           8
        .value_kind:     global_buffer
      - .actual_access:  read_only
        .address_space:  global
        .offset:         48
        .size:           8
        .value_kind:     global_buffer
      - .offset:         56
        .size:           4
        .value_kind:     by_value
      - .actual_access:  read_only
        .address_space:  global
        .offset:         64
        .size:           8
        .value_kind:     global_buffer
      - .actual_access:  read_only
        .address_space:  global
        .offset:         72
        .size:           8
        .value_kind:     global_buffer
      - .address_space:  global
        .offset:         80
        .size:           8
        .value_kind:     global_buffer
    .group_segment_fixed_size: 0
    .kernarg_segment_align: 8
    .kernarg_segment_size: 88
    .language:       OpenCL C
    .language_version:
      - 2
      - 0
    .max_flat_workgroup_size: 81
    .name:           fft_rtc_fwd_len2430_factors_10_3_3_3_3_3_wgs_81_tpt_81_halfLds_sp_ip_CI_sbrr_dirReg
    .private_segment_fixed_size: 0
    .sgpr_count:     25
    .sgpr_spill_count: 0
    .symbol:         fft_rtc_fwd_len2430_factors_10_3_3_3_3_3_wgs_81_tpt_81_halfLds_sp_ip_CI_sbrr_dirReg.kd
    .uniform_work_group_size: 1
    .uses_dynamic_stack: false
    .vgpr_count:     170
    .vgpr_spill_count: 0
    .wavefront_size: 32
    .workgroup_processor_mode: 1
amdhsa.target:   amdgcn-amd-amdhsa--gfx1030
amdhsa.version:
  - 1
  - 2
...

	.end_amdgpu_metadata
